;; amdgpu-corpus repo=ROCm/rocFFT kind=compiled arch=gfx1201 opt=O3
	.text
	.amdgcn_target "amdgcn-amd-amdhsa--gfx1201"
	.amdhsa_code_object_version 6
	.protected	bluestein_single_back_len810_dim1_half_op_CI_CI ; -- Begin function bluestein_single_back_len810_dim1_half_op_CI_CI
	.globl	bluestein_single_back_len810_dim1_half_op_CI_CI
	.p2align	8
	.type	bluestein_single_back_len810_dim1_half_op_CI_CI,@function
bluestein_single_back_len810_dim1_half_op_CI_CI: ; @bluestein_single_back_len810_dim1_half_op_CI_CI
; %bb.0:
	s_load_b128 s[8:11], s[0:1], 0x28
	v_mul_u32_u24_e32 v1, 0x32a, v0
	s_mov_b32 s2, exec_lo
	v_mov_b32_e32 v11, 0
	s_delay_alu instid0(VALU_DEP_2) | instskip(NEXT) | instid1(VALU_DEP_1)
	v_lshrrev_b32_e32 v1, 16, v1
	v_add_nc_u32_e32 v10, ttmp9, v1
	s_wait_kmcnt 0x0
	s_delay_alu instid0(VALU_DEP_1)
	v_cmpx_gt_u64_e64 s[8:9], v[10:11]
	s_cbranch_execz .LBB0_39
; %bb.1:
	s_clause 0x1
	s_load_b128 s[4:7], s[0:1], 0x18
	s_load_b64 s[16:17], s[0:1], 0x0
	v_mul_lo_u16 v1, 0x51, v1
	s_movk_i32 s2, 0xfe35
	s_mov_b32 s3, -1
	s_delay_alu instid0(VALU_DEP_1) | instskip(NEXT) | instid1(VALU_DEP_1)
	v_sub_nc_u16 v7, v0, v1
	v_and_b32_e32 v58, 0xffff, v7
	s_wait_kmcnt 0x0
	s_load_b128 s[12:15], s[4:5], 0x0
	s_wait_kmcnt 0x0
	v_mad_co_u64_u32 v[0:1], null, s14, v10, 0
	v_mad_co_u64_u32 v[2:3], null, s12, v58, 0
	s_mul_u64 s[4:5], s[12:13], 0x10e
	s_mul_u64 s[2:3], s[12:13], s[2:3]
	s_delay_alu instid0(SALU_CYCLE_1) | instskip(NEXT) | instid1(VALU_DEP_1)
	s_lshl_b64 s[2:3], s[2:3], 2
	v_mad_co_u64_u32 v[4:5], null, s15, v10, v[1:2]
	s_delay_alu instid0(VALU_DEP_1) | instskip(NEXT) | instid1(VALU_DEP_3)
	v_mov_b32_e32 v1, v4
	v_mad_co_u64_u32 v[5:6], null, s13, v58, v[3:4]
	v_lshlrev_b32_e32 v45, 2, v58
	s_lshl_b64 s[12:13], s[4:5], 2
	s_delay_alu instid0(VALU_DEP_3)
	v_lshlrev_b64_e32 v[0:1], 2, v[0:1]
	s_clause 0x2
	global_load_b32 v60, v45, s[16:17]
	global_load_b32 v56, v45, s[16:17] offset:324
	global_load_b32 v54, v45, s[16:17] offset:1404
	v_mov_b32_e32 v3, v5
	s_clause 0x2
	global_load_b32 v52, v45, s[16:17] offset:2484
	global_load_b32 v59, v45, s[16:17] offset:2160
	;; [unrolled: 1-line block ×3, first 2 shown]
	v_add_co_u32 v0, vcc_lo, s10, v0
	v_add_co_ci_u32_e32 v1, vcc_lo, s11, v1, vcc_lo
	v_lshlrev_b64_e32 v[2:3], 2, v[2:3]
	s_clause 0x2
	global_load_b32 v61, v45, s[16:17] offset:1080
	global_load_b32 v50, v45, s[16:17] offset:648
	;; [unrolled: 1-line block ×3, first 2 shown]
	v_add_co_u32 v0, vcc_lo, v0, v2
	s_wait_alu 0xfffd
	v_add_co_ci_u32_e32 v1, vcc_lo, v1, v3, vcc_lo
	global_load_b32 v6, v[0:1], off
	s_wait_alu 0xfffe
	v_add_co_u32 v0, vcc_lo, v0, s12
	s_wait_alu 0xfffd
	v_add_co_ci_u32_e32 v1, vcc_lo, s13, v1, vcc_lo
	s_delay_alu instid0(VALU_DEP_2) | instskip(SKIP_1) | instid1(VALU_DEP_2)
	v_add_co_u32 v2, vcc_lo, v0, s12
	s_wait_alu 0xfffd
	v_add_co_ci_u32_e32 v3, vcc_lo, s13, v1, vcc_lo
	s_clause 0x1
	global_load_b32 v11, v[0:1], off
	global_load_b32 v12, v[2:3], off
	v_add_co_u32 v0, vcc_lo, v2, s2
	s_wait_alu 0xfffd
	v_add_co_ci_u32_e32 v1, vcc_lo, s3, v3, vcc_lo
	s_delay_alu instid0(VALU_DEP_2) | instskip(SKIP_1) | instid1(VALU_DEP_2)
	v_add_co_u32 v2, vcc_lo, v0, s12
	s_wait_alu 0xfffd
	v_add_co_ci_u32_e32 v3, vcc_lo, s13, v1, vcc_lo
	s_clause 0x1
	global_load_b32 v13, v[0:1], off
	global_load_b32 v14, v[2:3], off
	v_add_co_u32 v0, vcc_lo, v2, s12
	s_wait_alu 0xfffd
	v_add_co_ci_u32_e32 v1, vcc_lo, s13, v3, vcc_lo
	s_delay_alu instid0(VALU_DEP_2) | instskip(SKIP_1) | instid1(VALU_DEP_2)
	v_add_co_u32 v2, vcc_lo, v0, s2
	s_wait_alu 0xfffd
	v_add_co_ci_u32_e32 v3, vcc_lo, s3, v1, vcc_lo
	global_load_b32 v15, v[0:1], off
	v_add_co_u32 v4, vcc_lo, v2, s12
	s_wait_alu 0xfffd
	v_add_co_ci_u32_e32 v5, vcc_lo, s13, v3, vcc_lo
	global_load_b32 v2, v[2:3], off
	;; [unrolled: 4-line block ×3, first 2 shown]
	global_load_b32 v5, v[0:1], off
	s_load_b64 s[4:5], s[0:1], 0x38
	s_load_b128 s[8:11], s[6:7], 0x0
	v_add_co_u32 v8, s6, s16, v45
	s_delay_alu instid0(VALU_DEP_1)
	v_add_co_ci_u32_e64 v9, null, s17, 0, s6
	v_add_nc_u32_e32 v4, 0x400, v45
	v_cmp_gt_u16_e32 vcc_lo, 27, v7
	s_wait_loadcnt 0x11
	v_lshrrev_b32_e32 v64, 16, v60
	s_wait_loadcnt 0x10
	v_lshrrev_b32_e32 v57, 16, v56
	;; [unrolled: 2-line block ×4, first 2 shown]
	v_lshrrev_b32_e32 v53, 16, v52
	s_wait_loadcnt 0xc
	v_lshrrev_b32_e32 v49, 16, v48
	s_wait_loadcnt 0xb
	;; [unrolled: 2-line block ×5, first 2 shown]
	v_lshrrev_b32_e32 v16, 16, v6
	v_mul_f16_e32 v17, v64, v6
	s_delay_alu instid0(VALU_DEP_2) | instskip(NEXT) | instid1(VALU_DEP_2)
	v_mul_f16_e32 v18, v64, v16
	v_fma_f16 v16, v60, v16, -v17
	s_wait_loadcnt 0x7
	v_lshrrev_b32_e32 v19, 16, v11
	v_mul_f16_e32 v20, v63, v11
	v_fmac_f16_e32 v18, v60, v6
	s_wait_loadcnt 0x6
	v_lshrrev_b32_e32 v17, 16, v12
	v_mul_f16_e32 v6, v63, v19
	v_fma_f16 v19, v61, v19, -v20
	v_mul_f16_e32 v20, v62, v12
	v_pack_b32_f16 v16, v18, v16
	s_delay_alu instid0(VALU_DEP_4) | instskip(SKIP_1) | instid1(VALU_DEP_4)
	v_fmac_f16_e32 v6, v61, v11
	v_mul_f16_e32 v11, v62, v17
	v_fma_f16 v17, v59, v17, -v20
	s_wait_loadcnt 0x5
	v_lshrrev_b32_e32 v18, 16, v13
	v_pack_b32_f16 v6, v6, v19
	v_fmac_f16_e32 v11, v59, v12
	s_wait_loadcnt 0x4
	v_lshrrev_b32_e32 v19, 16, v14
	v_mul_f16_e32 v21, v55, v14
	v_mul_f16_e32 v12, v57, v18
	;; [unrolled: 1-line block ×3, first 2 shown]
	v_pack_b32_f16 v11, v11, v17
	ds_store_b32 v45, v6 offset:1080
	ds_store_b32 v45, v11 offset:2160
	v_fmac_f16_e32 v12, v56, v13
	v_mul_f16_e32 v13, v55, v19
	v_fma_f16 v17, v54, v19, -v21
	s_wait_loadcnt 0x3
	v_lshrrev_b32_e32 v19, 16, v15
	v_fma_f16 v18, v56, v18, -v20
	v_mul_f16_e32 v20, v53, v15
	v_fmac_f16_e32 v13, v54, v14
	s_delay_alu instid0(VALU_DEP_4) | instskip(NEXT) | instid1(VALU_DEP_4)
	v_mul_f16_e32 v11, v53, v19
	v_pack_b32_f16 v6, v12, v18
	s_wait_loadcnt 0x2
	v_lshrrev_b32_e32 v12, 16, v2
	v_mul_f16_e32 v18, v51, v2
	v_fma_f16 v14, v52, v19, -v20
	v_fmac_f16_e32 v11, v52, v15
	s_wait_loadcnt 0x1
	v_lshrrev_b32_e32 v15, 16, v3
	s_wait_loadcnt 0x0
	v_lshrrev_b32_e32 v20, 16, v5
	v_mul_f16_e32 v19, v51, v12
	v_fma_f16 v12, v50, v12, -v18
	v_mul_f16_e32 v18, v49, v3
	v_mul_f16_e32 v21, v49, v15
	;; [unrolled: 1-line block ×4, first 2 shown]
	v_fmac_f16_e32 v19, v50, v2
	v_fma_f16 v2, v48, v15, -v18
	v_fmac_f16_e32 v21, v48, v3
	v_fma_f16 v3, v46, v20, -v22
	v_fmac_f16_e32 v23, v46, v5
	v_add_nc_u32_e32 v5, 0x800, v45
	v_pack_b32_f16 v12, v19, v12
	v_pack_b32_f16 v13, v13, v17
	;; [unrolled: 1-line block ×5, first 2 shown]
	ds_store_2addr_b32 v45, v16, v6 offset1:81
	ds_store_b32 v45, v12 offset:648
	ds_store_2addr_b32 v4, v13, v2 offset0:95 offset1:176
	ds_store_2addr_b32 v5, v11, v3 offset0:109 offset1:190
	s_and_saveexec_b32 s6, vcc_lo
	s_cbranch_execz .LBB0_3
; %bb.2:
	v_add_co_u32 v0, s2, v0, s2
	s_wait_alu 0xf1ff
	v_add_co_ci_u32_e64 v1, s2, s3, v1, s2
	global_load_b32 v11, v[8:9], off offset:972
	v_add_co_u32 v2, s2, v0, s12
	s_wait_alu 0xf1ff
	v_add_co_ci_u32_e64 v3, s2, s13, v1, s2
	s_delay_alu instid0(VALU_DEP_2) | instskip(SKIP_1) | instid1(VALU_DEP_2)
	v_add_co_u32 v6, s2, v2, s12
	s_wait_alu 0xf1ff
	v_add_co_ci_u32_e64 v7, s2, s13, v3, s2
	global_load_b32 v12, v[8:9], off offset:2052
	global_load_b32 v0, v[0:1], off
	global_load_b32 v1, v[8:9], off offset:3132
	global_load_b32 v2, v[2:3], off
	global_load_b32 v3, v[6:7], off
	s_wait_loadcnt 0x5
	v_lshrrev_b32_e32 v6, 16, v11
	s_wait_loadcnt 0x4
	v_lshrrev_b32_e32 v7, 16, v12
	;; [unrolled: 2-line block ×3, first 2 shown]
	v_mul_f16_e32 v14, v6, v0
	s_wait_loadcnt 0x1
	v_lshrrev_b32_e32 v16, 16, v2
	v_lshrrev_b32_e32 v15, 16, v1
	s_wait_loadcnt 0x0
	v_lshrrev_b32_e32 v17, 16, v3
	v_mul_f16_e32 v6, v6, v13
	v_fma_f16 v13, v11, v13, -v14
	v_mul_f16_e32 v14, v7, v2
	v_mul_f16_e32 v7, v7, v16
	v_mul_f16_e32 v18, v15, v17
	v_mul_f16_e32 v15, v15, v3
	v_fmac_f16_e32 v6, v11, v0
	v_fma_f16 v0, v12, v16, -v14
	v_fmac_f16_e32 v7, v12, v2
	v_fmac_f16_e32 v18, v1, v3
	v_fma_f16 v1, v1, v17, -v15
	v_pack_b32_f16 v2, v6, v13
	s_delay_alu instid0(VALU_DEP_4) | instskip(NEXT) | instid1(VALU_DEP_3)
	v_pack_b32_f16 v0, v7, v0
	v_pack_b32_f16 v1, v18, v1
	ds_store_b32 v45, v2 offset:972
	ds_store_b32 v45, v0 offset:2052
	ds_store_b32 v45, v1 offset:3132
.LBB0_3:
	s_wait_alu 0xfffe
	s_or_b32 exec_lo, exec_lo, s6
	v_add_nc_u32_e32 v0, 0x200, v45
	global_wb scope:SCOPE_SE
	s_wait_dscnt 0x0
	s_wait_kmcnt 0x0
	s_barrier_signal -1
	s_barrier_wait -1
	global_inv scope:SCOPE_SE
	ds_load_2addr_b32 v[6:7], v45 offset1:81
	ds_load_2addr_b32 v[2:3], v0 offset0:34 offset1:142
	ds_load_2addr_b32 v[0:1], v5 offset0:28 offset1:109
	;; [unrolled: 1-line block ×3, first 2 shown]
	ds_load_b32 v14, v45 offset:2808
                                        ; implicit-def: $vgpr12
                                        ; implicit-def: $vgpr13
                                        ; implicit-def: $vgpr11
	s_and_saveexec_b32 s2, vcc_lo
	s_cbranch_execz .LBB0_5
; %bb.4:
	ds_load_b32 v12, v45 offset:972
	ds_load_b32 v13, v45 offset:2052
	;; [unrolled: 1-line block ×3, first 2 shown]
.LBB0_5:
	s_wait_alu 0xfffe
	s_or_b32 exec_lo, exec_lo, s2
	s_wait_dscnt 0x0
	v_pk_add_f16 v15, v13, v11
	v_pk_add_f16 v16, v13, v11 neg_lo:[0,1] neg_hi:[0,1]
	s_load_b64 s[2:3], s[0:1], 0x8
	v_add_co_u32 v98, s0, 0x51, v58
	s_delay_alu instid0(VALU_DEP_3) | instskip(NEXT) | instid1(VALU_DEP_3)
	v_pk_fma_f16 v15, v15, 0.5, v12 op_sel_hi:[1,0,1] neg_lo:[1,0,0] neg_hi:[1,0,0]
	v_pk_mul_f16 v16, 0x3aee, v16 op_sel_hi:[0,1]
	s_wait_alu 0xf1ff
	v_add_co_ci_u32_e64 v27, null, 0, 0, s0
	v_add_co_u32 v97, s0, 0xa2, v58
	s_wait_alu 0xf1ff
	v_add_co_ci_u32_e64 v17, null, 0, 0, s0
	v_pk_add_f16 v17, v6, v3
	v_pk_add_f16 v28, v15, v16 op_sel:[0,1] op_sel_hi:[1,0]
	v_pk_add_f16 v29, v15, v16 op_sel:[0,1] op_sel_hi:[1,0] neg_lo:[0,1] neg_hi:[0,1]
	v_pk_add_f16 v15, v3, v0
	v_pk_add_f16 v3, v3, v0 neg_lo:[0,1] neg_hi:[0,1]
	v_mul_lo_u16 v16, v58, 3
	v_pk_add_f16 v18, v7, v4
	v_pk_add_f16 v19, v2, v5
	v_pk_fma_f16 v6, v15, 0.5, v6 op_sel_hi:[1,0,1] neg_lo:[1,0,0] neg_hi:[1,0,0]
	v_pk_mul_f16 v3, 0x3aee, v3 op_sel_hi:[0,1]
	v_and_b32_e32 v15, 0xffff, v16
	v_pk_add_f16 v0, v17, v0
	global_wb scope:SCOPE_SE
	s_wait_kmcnt 0x0
	s_barrier_signal -1
	v_pk_add_f16 v16, v6, v3 op_sel:[0,1] op_sel_hi:[1,0]
	v_pk_add_f16 v3, v6, v3 op_sel:[0,1] op_sel_hi:[1,0] neg_lo:[0,1] neg_hi:[0,1]
	v_pk_add_f16 v6, v4, v1
	v_pk_add_f16 v4, v4, v1 neg_lo:[0,1] neg_hi:[0,1]
	v_lshlrev_b32_e32 v67, 2, v15
	s_barrier_wait -1
	v_bfi_b32 v15, 0xffff, v16, v3
	v_pk_fma_f16 v6, v6, 0.5, v7 op_sel_hi:[1,0,1] neg_lo:[1,0,0] neg_hi:[1,0,0]
	v_pk_add_f16 v7, v5, v14
	v_pk_add_f16 v5, v5, v14 neg_lo:[0,1] neg_hi:[0,1]
	v_bfi_b32 v3, 0xffff, v3, v16
	v_pk_mul_f16 v4, 0x3aee, v4 op_sel_hi:[0,1]
	global_inv scope:SCOPE_SE
	ds_store_2addr_b32 v67, v0, v15 offset1:1
	ds_store_b32 v67, v3 offset:8
	v_pk_fma_f16 v0, v7, 0.5, v2 op_sel_hi:[1,0,1] neg_lo:[1,0,0] neg_hi:[1,0,0]
	v_pk_mul_f16 v2, 0x3aee, v5 op_sel_hi:[0,1]
	v_add_co_u32 v95, s0, 0xf3, v58
	v_mul_u32_u24_e32 v16, 3, v98
	v_pk_add_f16 v3, v6, v4 op_sel:[0,1] op_sel_hi:[1,0]
	v_pk_add_f16 v4, v6, v4 op_sel:[0,1] op_sel_hi:[1,0] neg_lo:[0,1] neg_hi:[0,1]
	v_mul_u32_u24_e32 v5, 3, v97
	v_pk_add_f16 v6, v0, v2 op_sel:[0,1] op_sel_hi:[1,0]
	v_pk_add_f16 v0, v0, v2 op_sel:[0,1] op_sel_hi:[1,0] neg_lo:[0,1] neg_hi:[0,1]
	s_wait_alu 0xf1ff
	v_add_co_ci_u32_e64 v96, null, 0, 0, s0
	v_lshrrev_b32_e32 v30, 16, v28
	v_lshlrev_b32_e32 v68, 2, v16
	v_pk_add_f16 v1, v18, v1
	v_bfi_b32 v2, 0xffff, v3, v4
	v_lshlrev_b32_e32 v70, 2, v5
	v_mul_u32_u24_e32 v69, 3, v95
	v_bfi_b32 v3, 0xffff, v4, v3
	v_pk_add_f16 v4, v19, v14
	v_bfi_b32 v5, 0xffff, v6, v0
	v_bfi_b32 v0, 0xffff, v0, v6
	ds_store_2addr_b32 v68, v1, v2 offset1:1
	ds_store_b32 v68, v3 offset:8
	ds_store_2addr_b32 v70, v4, v5 offset1:1
	ds_store_b32 v70, v0 offset:8
	s_and_saveexec_b32 s0, vcc_lo
	s_cbranch_execz .LBB0_7
; %bb.6:
	v_pk_add_f16 v0, v12, v13
	v_lshlrev_b32_e32 v1, 2, v69
	v_bfi_b32 v2, 0xffff, v28, v29
	v_perm_b32 v3, v30, v29, 0x5040100
	s_delay_alu instid0(VALU_DEP_4)
	v_pk_add_f16 v0, v0, v11
	ds_store_b32 v1, v0
	ds_store_2addr_b32 v1, v2, v3 offset0:1 offset1:2
.LBB0_7:
	s_wait_alu 0xfffe
	s_or_b32 exec_lo, exec_lo, s0
	v_and_b32_e32 v11, 0xff, v58
	global_wb scope:SCOPE_SE
	s_wait_dscnt 0x0
	s_barrier_signal -1
	s_barrier_wait -1
	global_inv scope:SCOPE_SE
	v_mul_lo_u16 v0, 0xab, v11
	v_add_nc_u32_e32 v24, 0x400, v45
	v_add_nc_u32_e32 v18, 0x600, v45
	;; [unrolled: 1-line block ×4, first 2 shown]
	v_lshrrev_b16 v22, 9, v0
	s_delay_alu instid0(VALU_DEP_1) | instskip(SKIP_1) | instid1(VALU_DEP_2)
	v_mul_lo_u16 v0, v22, 3
	v_and_b32_e32 v22, 0xffff, v22
	v_sub_nc_u16 v0, v58, v0
	s_delay_alu instid0(VALU_DEP_2) | instskip(NEXT) | instid1(VALU_DEP_2)
	v_mul_u32_u24_e32 v22, 30, v22
	v_and_b32_e32 v23, 0xff, v0
	s_delay_alu instid0(VALU_DEP_1) | instskip(NEXT) | instid1(VALU_DEP_3)
	v_mad_co_u64_u32 v[12:13], null, v23, 36, s[2:3]
	v_add_lshl_u32 v65, v22, v23, 2
	s_clause 0x2
	global_load_b128 v[4:7], v[12:13], off
	global_load_b128 v[0:3], v[12:13], off offset:16
	global_load_b32 v66, v[12:13], off offset:32
	ds_load_2addr_b32 v[12:13], v45 offset1:81
	ds_load_2addr_b32 v[14:15], v45 offset0:162 offset1:243
	ds_load_2addr_b32 v[16:17], v24 offset0:68 offset1:149
	ds_load_2addr_b32 v[18:19], v18 offset0:102 offset1:183
	ds_load_2addr_b32 v[20:21], v25 offset0:136 offset1:217
	global_wb scope:SCOPE_SE
	s_wait_loadcnt_dscnt 0x0
	s_barrier_signal -1
	s_barrier_wait -1
	global_inv scope:SCOPE_SE
	v_lshrrev_b32_e32 v35, 16, v16
	v_lshrrev_b32_e32 v32, 16, v13
	;; [unrolled: 1-line block ×19, first 2 shown]
	v_mul_f16_e32 v22, v32, v85
	v_mul_f16_e32 v23, v13, v85
	v_mul_f16_e32 v41, v33, v86
	v_mul_f16_e32 v42, v14, v86
	v_mul_f16_e32 v43, v34, v84
	v_mul_f16_e32 v44, v15, v84
	v_mul_f16_e32 v71, v35, v82
	v_mul_f16_e32 v72, v16, v82
	v_mul_f16_e32 v73, v36, v79
	v_mul_f16_e32 v74, v17, v79
	v_mul_f16_e32 v80, v37, v78
	v_mul_f16_e32 v81, v18, v78
	v_mul_f16_e32 v83, v38, v77
	v_mul_f16_e32 v87, v19, v77
	v_mul_f16_e32 v88, v39, v76
	v_mul_f16_e32 v89, v20, v76
	v_mul_f16_e32 v90, v40, v75
	v_mul_f16_e32 v91, v21, v75
	v_fma_f16 v13, v13, v4, -v22
	v_fmac_f16_e32 v23, v32, v4
	v_fma_f16 v14, v14, v5, -v41
	v_fmac_f16_e32 v42, v33, v5
	;; [unrolled: 2-line block ×9, first 2 shown]
	v_add_f16_e32 v22, v12, v14
	v_add_f16_e32 v32, v16, v18
	v_sub_f16_e32 v35, v14, v16
	v_sub_f16_e32 v36, v20, v18
	;; [unrolled: 1-line block ×4, first 2 shown]
	v_add_f16_e32 v40, v31, v42
	v_sub_f16_e32 v71, v42, v72
	v_sub_f16_e32 v73, v89, v81
	v_add_f16_e32 v88, v13, v15
	v_add_f16_e32 v90, v17, v19
	v_add_f16_e32 v103, v23, v44
	v_add_f16_e32 v104, v74, v87
	v_add_f16_e32 v100, v15, v21
	v_add_f16_e32 v108, v44, v91
	v_sub_f16_e32 v33, v42, v89
	v_sub_f16_e32 v34, v72, v81
	v_add_f16_e32 v37, v14, v20
	v_add_f16_e32 v41, v72, v81
	v_sub_f16_e32 v43, v16, v18
	v_add_f16_e32 v80, v42, v89
	v_sub_f16_e32 v42, v72, v42
	v_sub_f16_e32 v92, v44, v91
	;; [unrolled: 1-line block ×6, first 2 shown]
	v_add_f16_e32 v16, v22, v16
	v_fma_f16 v22, -0.5, v32, v12
	v_add_f16_e32 v32, v35, v36
	v_add_f16_e32 v35, v38, v39
	;; [unrolled: 1-line block ×5, first 2 shown]
	v_fma_f16 v40, -0.5, v90, v13
	v_add_f16_e32 v71, v103, v74
	v_fma_f16 v72, -0.5, v104, v23
	v_sub_f16_e32 v83, v81, v89
	v_sub_f16_e32 v93, v74, v87
	v_fmac_f16_e32 v13, -0.5, v100
	v_fmac_f16_e32 v23, -0.5, v108
	v_sub_f16_e32 v99, v21, v19
	v_sub_f16_e32 v102, v19, v21
	;; [unrolled: 1-line block ×5, first 2 shown]
	v_fmac_f16_e32 v12, -0.5, v37
	v_fma_f16 v37, -0.5, v41, v31
	v_fmac_f16_e32 v31, -0.5, v80
	v_add_f16_e32 v17, v17, v19
	v_fmamk_f16 v19, v92, 0x3b9c, v40
	v_add_f16_e32 v71, v71, v87
	v_fmamk_f16 v87, v15, 0xbb9c, v72
	v_sub_f16_e32 v44, v74, v44
	v_add_f16_e32 v39, v42, v83
	v_fmamk_f16 v83, v93, 0xbb9c, v13
	v_fmac_f16_e32 v13, 0x3b9c, v93
	v_fmamk_f16 v88, v105, 0x3b9c, v23
	v_fmac_f16_e32 v23, 0xbb9c, v105
	v_sub_f16_e32 v14, v14, v20
	v_fmac_f16_e32 v40, 0xbb9c, v92
	v_fmac_f16_e32 v72, 0x3b9c, v15
	v_add_f16_e32 v41, v94, v99
	v_add_f16_e32 v73, v106, v107
	;; [unrolled: 1-line block ×4, first 2 shown]
	v_fmamk_f16 v81, v43, 0x3b9c, v31
	v_fmac_f16_e32 v31, 0xbb9c, v43
	v_fmac_f16_e32 v19, 0x38b4, v93
	;; [unrolled: 1-line block ×3, first 2 shown]
	v_add_f16_e32 v42, v101, v102
	v_add_f16_e32 v44, v44, v109
	v_fmamk_f16 v18, v33, 0x3b9c, v22
	v_fmac_f16_e32 v22, 0xbb9c, v33
	v_fmamk_f16 v74, v34, 0xbb9c, v12
	v_fmac_f16_e32 v12, 0x3b9c, v34
	v_fmac_f16_e32 v83, 0x38b4, v92
	;; [unrolled: 1-line block ×5, first 2 shown]
	v_fmamk_f16 v80, v14, 0xbb9c, v37
	v_fmac_f16_e32 v37, 0x3b9c, v14
	v_fmac_f16_e32 v40, 0xb8b4, v93
	;; [unrolled: 1-line block ×3, first 2 shown]
	v_add_f16_e32 v16, v16, v20
	v_add_f16_e32 v20, v36, v89
	v_fmac_f16_e32 v81, 0xb8b4, v14
	v_fmac_f16_e32 v31, 0x38b4, v14
	v_add_f16_e32 v14, v17, v21
	v_add_f16_e32 v17, v71, v91
	v_fmac_f16_e32 v19, 0x34f2, v41
	v_fmac_f16_e32 v87, 0x34f2, v73
	;; [unrolled: 1-line block ×14, first 2 shown]
	v_add_f16_e32 v15, v16, v14
	v_add_f16_e32 v21, v20, v17
	v_sub_f16_e32 v14, v16, v14
	v_sub_f16_e32 v16, v20, v17
	v_mul_f16_e32 v17, 0x38b4, v87
	v_mul_f16_e32 v34, 0xb8b4, v19
	v_fmac_f16_e32 v18, 0x34f2, v32
	v_fmac_f16_e32 v22, 0x34f2, v32
	;; [unrolled: 1-line block ×4, first 2 shown]
	v_mul_f16_e32 v20, 0x3b9c, v88
	v_mul_f16_e32 v32, 0x34f2, v13
	;; [unrolled: 1-line block ×4, first 2 shown]
	v_fmac_f16_e32 v80, 0x34f2, v38
	v_fmac_f16_e32 v37, 0x34f2, v38
	v_mul_f16_e32 v33, 0x3a79, v40
	v_mul_f16_e32 v38, 0x3a79, v72
	v_fmac_f16_e32 v17, 0x3a79, v19
	v_fmac_f16_e32 v34, 0x3a79, v87
	v_fmac_f16_e32 v81, 0x34f2, v39
	v_fmac_f16_e32 v31, 0x34f2, v39
	v_pack_b32_f16 v14, v14, v16
	v_fmac_f16_e32 v20, 0x34f2, v83
	v_fma_f16 v16, v23, 0x3b9c, -v32
	v_fmac_f16_e32 v36, 0x34f2, v88
	v_fma_f16 v13, v13, 0xbb9c, -v35
	v_pack_b32_f16 v15, v15, v21
	v_fma_f16 v19, v72, 0x38b4, -v33
	v_fma_f16 v21, v40, 0xb8b4, -v38
	v_add_f16_e32 v23, v18, v17
	v_add_f16_e32 v39, v80, v34
	;; [unrolled: 1-line block ×8, first 2 shown]
	v_sub_f16_e32 v17, v18, v17
	v_sub_f16_e32 v18, v74, v20
	;; [unrolled: 1-line block ×8, first 2 shown]
	v_pack_b32_f16 v20, v23, v39
	v_pack_b32_f16 v21, v32, v40
	v_pack_b32_f16 v22, v33, v41
	v_pack_b32_f16 v23, v38, v42
	v_pack_b32_f16 v16, v17, v16
	v_pack_b32_f16 v17, v18, v19
	v_pack_b32_f16 v12, v12, v13
	v_pack_b32_f16 v13, v35, v36
	ds_store_2addr_b32 v65, v15, v20 offset1:3
	ds_store_2addr_b32 v65, v21, v22 offset0:6 offset1:9
	ds_store_2addr_b32 v65, v23, v14 offset0:12 offset1:15
	;; [unrolled: 1-line block ×4, first 2 shown]
	global_wb scope:SCOPE_SE
	s_wait_dscnt 0x0
	s_barrier_signal -1
	s_barrier_wait -1
	global_inv scope:SCOPE_SE
	ds_load_2addr_b32 v[21:22], v45 offset1:81
	ds_load_2addr_b32 v[19:20], v26 offset0:34 offset1:142
	ds_load_2addr_b32 v[25:26], v25 offset0:28 offset1:109
	;; [unrolled: 1-line block ×3, first 2 shown]
	ds_load_b32 v31, v45 offset:2808
	v_lshrrev_b32_e32 v32, 16, v29
	s_and_saveexec_b32 s0, vcc_lo
	s_cbranch_execz .LBB0_9
; %bb.8:
	ds_load_b32 v35, v45 offset:972
	ds_load_b32 v28, v45 offset:2052
	;; [unrolled: 1-line block ×3, first 2 shown]
	s_wait_dscnt 0x2
	v_lshrrev_b32_e32 v36, 16, v35
	s_wait_dscnt 0x1
	v_lshrrev_b32_e32 v32, 16, v28
	;; [unrolled: 2-line block ×3, first 2 shown]
.LBB0_9:
	s_wait_alu 0xfffe
	s_or_b32 exec_lo, exec_lo, s0
	v_mul_lo_u16 v11, 0x89, v11
	v_and_b32_e32 v12, 0xff, v98
	v_and_b32_e32 v38, 0xff, v97
	;; [unrolled: 1-line block ×3, first 2 shown]
	s_wait_dscnt 0x3
	v_lshrrev_b32_e32 v80, 16, v20
	v_lshrrev_b16 v33, 12, v11
	v_mul_lo_u16 v11, 0x89, v12
	v_mul_lo_u16 v13, 0x89, v38
	s_wait_dscnt 0x2
	v_lshrrev_b32_e32 v81, 16, v25
	s_wait_dscnt 0x1
	v_lshrrev_b32_e32 v99, 16, v23
	v_mul_lo_u16 v12, v33, 30
	v_lshrrev_b16 v34, 12, v11
	v_lshrrev_b16 v39, 12, v13
	v_and_b32_e32 v33, 0xffff, v33
	v_lshrrev_b32_e32 v100, 16, v26
	v_sub_nc_u16 v11, v58, v12
	v_mul_u32_u24_e32 v12, 0x8889, v37
	v_mul_lo_u16 v13, v34, 30
	v_and_b32_e32 v34, 0xffff, v34
	v_mul_u32_u24_e32 v33, 0x5a, v33
	v_and_b32_e32 v40, 0xff, v11
	v_lshrrev_b32_e32 v12, 20, v12
	v_mul_lo_u16 v11, v39, 30
	v_sub_nc_u16 v13, v98, v13
	v_and_b32_e32 v39, 0xffff, v39
	v_lshlrev_b32_e32 v14, 3, v40
	v_mul_lo_u16 v12, v12, 30
	v_sub_nc_u16 v11, v97, v11
	v_and_b32_e32 v41, 0xff, v13
	v_mul_u32_u24_e32 v34, 0x5a, v34
	global_load_b64 v[17:18], v14, s[2:3] offset:108
	v_sub_nc_u16 v43, v95, v12
	v_and_b32_e32 v42, 0xff, v11
	v_lshlrev_b32_e32 v11, 3, v41
	v_mul_u32_u24_e32 v39, 0x5a, v39
	v_lshrrev_b32_e32 v102, 16, v24
	v_lshlrev_b16 v44, 3, v43
	v_lshlrev_b32_e32 v12, 3, v42
	s_wait_dscnt 0x0
	v_lshrrev_b32_e32 v103, 16, v31
	s_clause 0x1
	global_load_b64 v[15:16], v11, s[2:3] offset:108
	global_load_b64 v[13:14], v12, s[2:3] offset:108
	v_and_b32_e32 v11, 0xffff, v44
	v_add_lshl_u32 v72, v33, v40, 2
	v_add_lshl_u32 v74, v34, v41, 2
	;; [unrolled: 1-line block ×3, first 2 shown]
	v_lshrrev_b32_e32 v44, 16, v21
	v_add_co_u32 v11, s0, s2, v11
	s_wait_alu 0xf1ff
	v_add_co_ci_u32_e64 v12, null, s3, 0, s0
	v_and_b32_e32 v71, 0xffff, v43
	v_lshrrev_b32_e32 v83, 16, v22
	v_lshrrev_b32_e32 v101, 16, v19
	global_load_b64 v[11:12], v[11:12], off offset:108
	global_wb scope:SCOPE_SE
	s_wait_loadcnt 0x0
	s_barrier_signal -1
	s_barrier_wait -1
	global_inv scope:SCOPE_SE
	v_lshrrev_b32_e32 v94, 16, v17
	v_lshrrev_b32_e32 v92, 16, v18
	s_delay_alu instid0(VALU_DEP_2) | instskip(SKIP_1) | instid1(VALU_DEP_3)
	v_mul_f16_e32 v33, v80, v94
	v_mul_f16_e32 v34, v20, v94
	;; [unrolled: 1-line block ×4, first 2 shown]
	v_lshrrev_b32_e32 v93, 16, v15
	v_lshrrev_b32_e32 v91, 16, v16
	;; [unrolled: 1-line block ×4, first 2 shown]
	v_fma_f16 v20, v20, v17, -v33
	v_fmac_f16_e32 v34, v80, v17
	v_fma_f16 v25, v25, v18, -v39
	v_fmac_f16_e32 v40, v81, v18
	v_mul_f16_e32 v33, v99, v93
	v_mul_f16_e32 v39, v23, v93
	;; [unrolled: 1-line block ×8, first 2 shown]
	v_lshrrev_b32_e32 v90, 16, v11
	v_lshrrev_b32_e32 v88, 16, v12
	v_fma_f16 v23, v23, v15, -v33
	v_fmac_f16_e32 v39, v99, v15
	v_fma_f16 v26, v26, v16, -v41
	v_fmac_f16_e32 v42, v100, v16
	;; [unrolled: 2-line block ×4, first 2 shown]
	v_mul_f16_e32 v33, v32, v90
	v_mul_f16_e32 v41, v28, v90
	;; [unrolled: 1-line block ×4, first 2 shown]
	v_add_f16_e32 v100, v20, v25
	v_sub_f16_e32 v102, v34, v40
	v_add_f16_e32 v103, v44, v34
	v_add_f16_e32 v34, v34, v40
	;; [unrolled: 1-line block ×3, first 2 shown]
	v_sub_f16_e32 v20, v20, v25
	v_fma_f16 v28, v28, v11, -v33
	v_fmac_f16_e32 v41, v32, v11
	v_fma_f16 v29, v29, v12, -v43
	v_fmac_f16_e32 v81, v30, v12
	v_fma_f16 v21, -0.5, v100, v21
	v_add_f16_e32 v30, v103, v40
	v_fmac_f16_e32 v44, -0.5, v34
	v_add_f16_e32 v32, v22, v23
	v_sub_f16_e32 v34, v39, v42
	v_add_f16_e32 v40, v83, v39
	v_add_f16_e32 v39, v39, v42
	;; [unrolled: 1-line block ×3, first 2 shown]
	v_sub_f16_e32 v100, v80, v104
	v_add_f16_e32 v103, v101, v80
	v_add_f16_e32 v80, v80, v104
	;; [unrolled: 1-line block ×4, first 2 shown]
	v_sub_f16_e32 v23, v23, v26
	v_fmamk_f16 v105, v102, 0x3aee, v21
	v_fmac_f16_e32 v21, 0xbaee, v102
	v_fmamk_f16 v102, v20, 0xbaee, v44
	v_fmac_f16_e32 v44, 0x3aee, v20
	v_add_f16_e32 v20, v32, v26
	v_add_f16_e32 v26, v40, v42
	v_fmac_f16_e32 v83, -0.5, v39
	v_add_f16_e32 v39, v28, v29
	v_sub_f16_e32 v40, v41, v81
	v_add_f16_e32 v42, v36, v41
	v_add_f16_e32 v41, v41, v81
	;; [unrolled: 1-line block ×3, first 2 shown]
	v_sub_f16_e32 v24, v24, v31
	v_fmac_f16_e32 v22, -0.5, v33
	v_fmac_f16_e32 v101, -0.5, v80
	;; [unrolled: 1-line block ×3, first 2 shown]
	v_add_f16_e32 v33, v35, v28
	v_sub_f16_e32 v28, v28, v29
	v_fmac_f16_e32 v35, -0.5, v39
	v_fmac_f16_e32 v36, -0.5, v41
	v_add_f16_e32 v31, v43, v31
	v_pack_b32_f16 v25, v25, v30
	v_fmamk_f16 v30, v34, 0x3aee, v22
	v_fmac_f16_e32 v22, 0xbaee, v34
	v_fmamk_f16 v34, v23, 0xbaee, v83
	v_fmamk_f16 v43, v24, 0xbaee, v101
	v_fmac_f16_e32 v101, 0x3aee, v24
	v_pack_b32_f16 v24, v105, v102
	v_fmac_f16_e32 v83, 0x3aee, v23
	v_add_f16_e32 v32, v103, v104
	v_fmamk_f16 v23, v100, 0x3aee, v19
	v_fmac_f16_e32 v19, 0xbaee, v100
	v_add_f16_e32 v111, v33, v29
	v_add_f16_e32 v112, v42, v81
	v_pack_b32_f16 v21, v21, v44
	v_fmamk_f16 v41, v40, 0x3aee, v35
	v_fmac_f16_e32 v35, 0xbaee, v40
	v_fmamk_f16 v42, v28, 0xbaee, v36
	v_fmac_f16_e32 v36, 0x3aee, v28
	v_pack_b32_f16 v20, v20, v26
	ds_store_2addr_b32 v72, v25, v24 offset1:30
	v_pack_b32_f16 v24, v30, v34
	v_pack_b32_f16 v22, v22, v83
	;; [unrolled: 1-line block ×5, first 2 shown]
	ds_store_b32 v72, v21 offset:240
	ds_store_2addr_b32 v74, v20, v24 offset1:30
	ds_store_b32 v74, v22 offset:240
	ds_store_2addr_b32 v73, v26, v23 offset1:30
	ds_store_b32 v73, v19 offset:240
	s_and_saveexec_b32 s0, vcc_lo
	s_cbranch_execz .LBB0_11
; %bb.10:
	v_lshlrev_b32_e32 v19, 2, v71
	v_perm_b32 v20, v112, v111, 0x5040100
	v_perm_b32 v21, v42, v41, 0x5040100
	;; [unrolled: 1-line block ×3, first 2 shown]
	s_delay_alu instid0(VALU_DEP_4)
	v_add_nc_u32_e32 v22, 0x800, v19
	ds_store_2addr_b32 v22, v20, v21 offset0:208 offset1:238
	ds_store_b32 v19, v23 offset:3120
.LBB0_11:
	s_wait_alu 0xfffe
	s_or_b32 exec_lo, exec_lo, s0
	v_add_nc_u32_e32 v19, 0x200, v45
	v_add_nc_u32_e32 v21, 0x800, v45
	;; [unrolled: 1-line block ×3, first 2 shown]
	global_wb scope:SCOPE_SE
	s_wait_dscnt 0x0
	s_barrier_signal -1
	s_barrier_wait -1
	global_inv scope:SCOPE_SE
	ds_load_2addr_b32 v[29:30], v45 offset1:81
	ds_load_2addr_b32 v[19:20], v19 offset0:34 offset1:142
	ds_load_2addr_b32 v[33:34], v21 offset0:28 offset1:109
	;; [unrolled: 1-line block ×3, first 2 shown]
	ds_load_b32 v43, v45 offset:2808
	s_and_saveexec_b32 s0, vcc_lo
	s_cbranch_execz .LBB0_13
; %bb.12:
	ds_load_b32 v111, v45 offset:972
	ds_load_b32 v41, v45 offset:2052
	;; [unrolled: 1-line block ×3, first 2 shown]
	s_wait_dscnt 0x2
	v_lshrrev_b32_e32 v112, 16, v111
	s_wait_dscnt 0x1
	v_lshrrev_b32_e32 v42, 16, v41
	;; [unrolled: 2-line block ×3, first 2 shown]
.LBB0_13:
	s_wait_alu 0xfffe
	s_or_b32 exec_lo, exec_lo, s0
	v_add_co_u32 v21, s0, v58, -9
	v_mul_lo_u16 v25, 0xb7, v38
	s_wait_alu 0xf1ff
	v_add_co_ci_u32_e64 v22, null, 0, -1, s0
	v_cmp_gt_u16_e64 s0, 9, v58
	v_lshlrev_b32_e32 v40, 3, v58
	v_lshrrev_b16 v44, 14, v25
	v_mul_u32_u24_e32 v25, 0x2d83, v37
	s_wait_dscnt 0x3
	v_lshrrev_b32_e32 v100, 16, v20
	s_wait_alu 0xf1ff
	v_cndmask_b32_e64 v39, v22, v27, s0
	v_cndmask_b32_e64 v38, v21, v98, s0
	v_mul_lo_u16 v26, 0x5a, v44
	v_lshrrev_b32_e32 v25, 20, v25
	global_load_b64 v[23:24], v40, s[2:3] offset:348
	v_and_b32_e32 v44, 0xffff, v44
	v_lshlrev_b64_e32 v[21:22], 3, v[38:39]
	v_sub_nc_u16 v26, v97, v26
	v_mul_lo_u16 v25, 0x5a, v25
	s_wait_dscnt 0x2
	v_lshrrev_b32_e32 v103, 16, v33
	v_mul_u32_u24_e32 v44, 0x10e, v44
	v_lshrrev_b32_e32 v99, 16, v29
	v_add_co_u32 v21, s0, s2, v21
	s_wait_alu 0xf1ff
	v_add_co_ci_u32_e64 v22, s0, s3, v22, s0
	v_and_b32_e32 v37, 0xff, v26
	v_sub_nc_u16 v80, v95, v25
	s_wait_dscnt 0x1
	v_lshrrev_b32_e32 v104, 16, v31
	global_load_b64 v[27:28], v[21:22], off offset:348
	v_lshrrev_b32_e32 v107, 16, v34
	v_lshlrev_b32_e32 v21, 3, v37
	v_lshlrev_b16 v22, 3, v80
	v_add_lshl_u32 v83, v44, v37, 2
	v_lshrrev_b32_e32 v110, 16, v32
	s_wait_dscnt 0x0
	v_lshrrev_b32_e32 v113, 16, v43
	global_load_b64 v[25:26], v21, s[2:3] offset:348
	v_and_b32_e32 v21, 0xffff, v22
	v_lshrrev_b32_e32 v109, 16, v30
	v_lshrrev_b32_e32 v115, 16, v19
	v_and_b32_e32 v80, 0xffff, v80
	s_delay_alu instid0(VALU_DEP_4)
	v_add_co_u32 v21, s0, s2, v21
	s_wait_alu 0xf1ff
	v_add_co_ci_u32_e64 v22, null, s3, 0, s0
	v_cmp_lt_u16_e64 s0, 8, v58
	global_load_b64 v[21:22], v[21:22], off offset:348
	global_wb scope:SCOPE_SE
	s_wait_loadcnt 0x0
	s_wait_alu 0xf1ff
	v_cndmask_b32_e64 v81, 0, 0x10e, s0
	s_barrier_signal -1
	s_barrier_wait -1
	global_inv scope:SCOPE_SE
	v_add_co_u32 v39, s0, s2, v40
	v_add_lshl_u32 v81, v38, v81, 2
	s_wait_alu 0xf1ff
	v_add_co_ci_u32_e64 v40, null, s3, 0, s0
	v_lshrrev_b32_e32 v101, 16, v23
	v_lshrrev_b32_e32 v102, 16, v24
	s_delay_alu instid0(VALU_DEP_2) | instskip(SKIP_1) | instid1(VALU_DEP_3)
	v_mul_f16_e32 v37, v100, v101
	v_mul_f16_e32 v38, v20, v101
	;; [unrolled: 1-line block ×4, first 2 shown]
	s_delay_alu instid0(VALU_DEP_4) | instskip(NEXT) | instid1(VALU_DEP_4)
	v_fma_f16 v20, v20, v23, -v37
	v_fmac_f16_e32 v38, v100, v23
	s_delay_alu instid0(VALU_DEP_4) | instskip(NEXT) | instid1(VALU_DEP_4)
	v_fma_f16 v33, v33, v24, -v44
	v_fmac_f16_e32 v106, v103, v24
	s_delay_alu instid0(VALU_DEP_4) | instskip(NEXT) | instid1(VALU_DEP_4)
	v_add_f16_e32 v37, v29, v20
	v_add_f16_e32 v103, v99, v38
	s_delay_alu instid0(VALU_DEP_4) | instskip(NEXT) | instid1(VALU_DEP_4)
	v_add_f16_e32 v44, v20, v33
	v_sub_f16_e32 v100, v38, v106
	v_add_f16_e32 v38, v38, v106
	v_lshrrev_b32_e32 v108, 16, v27
	v_lshrrev_b32_e32 v105, 16, v28
	v_sub_f16_e32 v20, v20, v33
	v_add_f16_e32 v33, v37, v33
	v_fma_f16 v29, -0.5, v44, v29
	v_add_f16_e32 v37, v103, v106
	v_fmac_f16_e32 v99, -0.5, v38
	v_mul_f16_e32 v38, v104, v108
	v_mul_f16_e32 v44, v31, v108
	;; [unrolled: 1-line block ×4, first 2 shown]
	v_lshrrev_b32_e32 v106, 16, v25
	v_lshrrev_b32_e32 v103, 16, v26
	v_fmamk_f16 v117, v100, 0x3aee, v29
	v_fmac_f16_e32 v29, 0xbaee, v100
	v_fmamk_f16 v100, v20, 0xbaee, v99
	v_fmac_f16_e32 v99, 0x3aee, v20
	v_pack_b32_f16 v20, v33, v37
	v_fma_f16 v31, v31, v27, -v38
	v_fmac_f16_e32 v44, v104, v27
	v_fma_f16 v33, v34, v28, -v114
	v_fmac_f16_e32 v116, v107, v28
	v_mul_f16_e32 v34, v110, v106
	v_mul_f16_e32 v37, v32, v106
	;; [unrolled: 1-line block ×4, first 2 shown]
	v_lshrrev_b32_e32 v107, 16, v21
	v_lshrrev_b32_e32 v104, 16, v22
	v_pack_b32_f16 v100, v117, v100
	v_pack_b32_f16 v29, v29, v99
	v_add_f16_e32 v99, v30, v31
	v_sub_f16_e32 v118, v44, v116
	v_add_f16_e32 v119, v109, v44
	v_add_f16_e32 v44, v44, v116
	v_fma_f16 v32, v32, v25, -v34
	v_fmac_f16_e32 v37, v110, v25
	v_fma_f16 v34, v43, v26, -v38
	v_fmac_f16_e32 v114, v113, v26
	v_mul_f16_e32 v38, v42, v107
	v_mul_f16_e32 v43, v41, v107
	;; [unrolled: 1-line block ×4, first 2 shown]
	v_add_f16_e32 v117, v31, v33
	v_sub_f16_e32 v31, v31, v33
	ds_store_2addr_b32 v45, v20, v100 offset1:90
	ds_store_b32 v45, v29 offset:720
	v_add_f16_e32 v20, v99, v33
	v_add_f16_e32 v29, v119, v116
	v_fmac_f16_e32 v109, -0.5, v44
	v_fma_f16 v33, v41, v21, -v38
	v_fmac_f16_e32 v43, v42, v21
	v_fma_f16 v35, v35, v22, -v110
	v_fmac_f16_e32 v113, v36, v22
	v_add_f16_e32 v36, v19, v32
	v_add_f16_e32 v42, v115, v37
	v_fmac_f16_e32 v30, -0.5, v117
	v_add_f16_e32 v38, v32, v34
	v_sub_f16_e32 v41, v37, v114
	v_add_f16_e32 v37, v37, v114
	v_fmamk_f16 v99, v31, 0xbaee, v109
	v_fmac_f16_e32 v109, 0x3aee, v31
	v_pack_b32_f16 v20, v20, v29
	v_add_f16_e32 v29, v36, v34
	v_add_f16_e32 v31, v42, v114
	;; [unrolled: 1-line block ×4, first 2 shown]
	v_sub_f16_e32 v32, v32, v34
	v_fmamk_f16 v44, v118, 0x3aee, v30
	v_fmac_f16_e32 v19, -0.5, v38
	v_fmac_f16_e32 v115, -0.5, v37
	v_fmac_f16_e32 v30, 0xbaee, v118
	v_add_f16_e32 v34, v111, v33
	v_sub_f16_e32 v37, v43, v113
	v_add_f16_e32 v38, v112, v43
	v_sub_f16_e32 v33, v33, v35
	v_fmac_f16_e32 v111, -0.5, v36
	v_fmac_f16_e32 v112, -0.5, v42
	v_pack_b32_f16 v43, v44, v99
	v_fmamk_f16 v44, v41, 0x3aee, v19
	v_fmac_f16_e32 v19, 0xbaee, v41
	v_fmamk_f16 v41, v32, 0xbaee, v115
	v_fmac_f16_e32 v115, 0x3aee, v32
	v_pack_b32_f16 v30, v30, v109
	v_add_f16_e32 v109, v34, v35
	v_add_f16_e32 v110, v38, v113
	v_fmamk_f16 v113, v37, 0x3aee, v111
	v_fmac_f16_e32 v111, 0xbaee, v37
	v_fmamk_f16 v114, v33, 0xbaee, v112
	v_fmac_f16_e32 v112, 0x3aee, v33
	v_pack_b32_f16 v29, v29, v31
	v_pack_b32_f16 v31, v44, v41
	;; [unrolled: 1-line block ×3, first 2 shown]
	ds_store_2addr_b32 v81, v20, v43 offset1:90
	ds_store_b32 v81, v30 offset:720
	ds_store_2addr_b32 v83, v29, v31 offset1:90
	ds_store_b32 v83, v19 offset:720
	s_and_saveexec_b32 s0, vcc_lo
	s_cbranch_execz .LBB0_15
; %bb.14:
	v_lshlrev_b32_e32 v19, 2, v80
	v_perm_b32 v20, v110, v109, 0x5040100
	v_perm_b32 v29, v114, v113, 0x5040100
	;; [unrolled: 1-line block ×3, first 2 shown]
	s_delay_alu instid0(VALU_DEP_4)
	v_add_nc_u32_e32 v30, 0x800, v19
	ds_store_2addr_b32 v30, v20, v29 offset0:28 offset1:118
	ds_store_b32 v19, v31 offset:2880
.LBB0_15:
	s_wait_alu 0xfffe
	s_or_b32 exec_lo, exec_lo, s0
	v_add_nc_u32_e32 v19, 0x200, v45
	v_add_nc_u32_e32 v118, 0x800, v45
	;; [unrolled: 1-line block ×3, first 2 shown]
	global_wb scope:SCOPE_SE
	s_wait_dscnt 0x0
	s_barrier_signal -1
	s_barrier_wait -1
	global_inv scope:SCOPE_SE
	ds_load_2addr_b32 v[37:38], v45 offset1:81
	ds_load_2addr_b32 v[35:36], v19 offset0:34 offset1:142
	ds_load_2addr_b32 v[43:44], v118 offset0:28 offset1:109
	;; [unrolled: 1-line block ×3, first 2 shown]
	ds_load_b32 v115, v45 offset:2808
	s_and_saveexec_b32 s0, vcc_lo
	s_cbranch_execz .LBB0_17
; %bb.16:
	ds_load_b32 v109, v45 offset:972
	ds_load_b32 v113, v45 offset:2052
	ds_load_b32 v111, v45 offset:3132
	s_wait_dscnt 0x2
	v_lshrrev_b32_e32 v110, 16, v109
	s_wait_dscnt 0x1
	v_lshrrev_b32_e32 v114, 16, v113
	;; [unrolled: 2-line block ×3, first 2 shown]
.LBB0_17:
	s_wait_alu 0xfffe
	s_or_b32 exec_lo, exec_lo, s0
	v_lshlrev_b32_e32 v19, 3, v98
	v_lshlrev_b32_e32 v20, 3, v97
	global_load_b64 v[29:30], v[39:40], off offset:1068
	s_wait_dscnt 0x3
	v_lshrrev_b32_e32 v40, 16, v36
	s_wait_dscnt 0x2
	v_lshrrev_b32_e32 v116, 16, v43
	s_clause 0x1
	global_load_b64 v[33:34], v19, s[2:3] offset:1068
	global_load_b64 v[31:32], v20, s[2:3] offset:1068
	v_add_co_u32 v19, s0, 0xffffffe5, v58
	s_wait_alu 0xf1ff
	v_add_co_ci_u32_e64 v20, null, 0, -1, s0
	s_wait_dscnt 0x1
	v_lshrrev_b32_e32 v120, 16, v41
	v_cndmask_b32_e32 v19, v19, v95, vcc_lo
	v_lshrrev_b32_e32 v121, 16, v44
	v_cndmask_b32_e32 v20, v20, v96, vcc_lo
	v_lshrrev_b32_e32 v39, 16, v37
	v_lshrrev_b32_e32 v123, 16, v42
	s_wait_dscnt 0x0
	v_lshrrev_b32_e32 v124, 16, v115
	v_lshrrev_b32_e32 v117, 16, v38
	v_lshlrev_b64_e32 v[19:20], 3, v[19:20]
	v_lshrrev_b32_e32 v122, 16, v35
	s_delay_alu instid0(VALU_DEP_2) | instskip(SKIP_1) | instid1(VALU_DEP_3)
	v_add_co_u32 v19, s0, s2, v19
	s_wait_alu 0xf1ff
	v_add_co_ci_u32_e64 v20, s0, s3, v20, s0
	global_load_b64 v[19:20], v[19:20], off offset:1068
	s_wait_loadcnt 0x3
	v_lshrrev_b32_e32 v100, 16, v29
	v_lshrrev_b32_e32 v98, 16, v30
	s_wait_loadcnt 0x2
	v_lshrrev_b32_e32 v99, 16, v33
	v_lshrrev_b32_e32 v97, 16, v34
	s_wait_loadcnt 0x1
	v_lshrrev_b32_e32 v96, 16, v31
	v_mul_f16_e32 v125, v40, v100
	v_mul_f16_e32 v126, v36, v100
	;; [unrolled: 1-line block ×3, first 2 shown]
	v_mul_f16_e64 v128, v43, v98
	v_lshrrev_b32_e32 v95, 16, v32
	v_fma_f16 v36, v36, v29, -v125
	v_fmac_f16_e32 v126, v40, v29
	v_fma_f16 v40, v43, v30, -v127
	v_fmac_f16_e64 v128, v116, v30
	v_mul_f16_e32 v43, v120, v99
	v_mul_f16_e32 v116, v41, v99
	;; [unrolled: 1-line block ×3, first 2 shown]
	v_mul_f16_e64 v130, v42, v96
	v_mul_f16_e64 v132, v115, v95
	v_mul_f16_e32 v127, v44, v97
	v_mul_f16_e64 v129, v123, v96
	v_mul_f16_e64 v131, v124, v95
	v_fma_f16 v41, v41, v33, -v43
	v_fmac_f16_e32 v116, v120, v33
	v_fma_f16 v120, v44, v34, -v125
	v_fmac_f16_e64 v130, v123, v31
	v_fmac_f16_e64 v132, v124, v32
	v_add_f16_e32 v43, v37, v36
	v_add_f16_e32 v44, v36, v40
	;; [unrolled: 1-line block ×3, first 2 shown]
	v_add_f16_e64 v124, v126, v128
	v_fmac_f16_e32 v127, v121, v34
	v_fma_f16 v42, v42, v31, -v129
	v_sub_f16_e64 v121, v126, v128
	v_sub_f16_e32 v36, v36, v40
	v_add_f16_e32 v40, v43, v40
	v_fma_f16 v37, -0.5, v44, v37
	v_add_f16_e64 v123, v123, v128
	v_fmac_f16_e32 v39, -0.5, v124
	v_add_f16_e32 v124, v38, v41
	v_add_f16_e32 v125, v41, v120
	v_add_f16_e64 v128, v117, v116
	s_wait_loadcnt 0x0
	v_lshrrev_b32_e32 v44, 16, v19
	v_lshrrev_b32_e32 v43, 16, v20
	v_fma_f16 v115, v115, v32, -v131
	v_sub_f16_e32 v126, v116, v127
	v_add_f16_e32 v116, v116, v127
	v_sub_f16_e32 v41, v41, v120
	v_add_f16_e64 v129, v35, v42
	v_add_f16_e64 v134, v122, v130
	v_fma_f16 v135, 0x3aee, v121, v37
	v_fmac_f16_e32 v37, 0xbaee, v121
	v_fmamk_f16 v121, v36, 0xbaee, v39
	v_fmac_f16_e32 v39, 0x3aee, v36
	v_add_f16_e32 v36, v124, v120
	v_fmac_f16_e32 v38, -0.5, v125
	v_add_f16_e64 v120, v128, v127
	v_pack_b32_f16 v40, v40, v123
	v_mul_f16_e32 v123, v114, v44
	v_mul_f16_e32 v124, v113, v44
	;; [unrolled: 1-line block ×4, first 2 shown]
	v_add_f16_e64 v131, v42, v115
	v_sub_f16_e32 v42, v42, v115
	v_fmac_f16_e32 v117, -0.5, v116
	v_add_f16_e64 v115, v129, v115
	v_add_f16_e64 v116, v134, v132
	v_fma_f16 v113, v113, v19, -v123
	v_fmac_f16_e32 v124, v114, v19
	v_fma_f16 v111, v111, v20, -v125
	v_fmac_f16_e32 v127, v112, v20
	v_sub_f16_e64 v133, v130, v132
	v_add_f16_e64 v130, v130, v132
	v_fma_f16 v128, 0x3aee, v126, v38
	v_fmac_f16_e32 v38, 0xbaee, v126
	v_fmamk_f16 v126, v41, 0xbaee, v117
	v_fmac_f16_e32 v117, 0x3aee, v41
	v_pack_b32_f16 v37, v37, v39
	v_pack_b32_f16 v39, v115, v116
	v_add_f16_e32 v114, v113, v111
	v_add_f16_e32 v116, v124, v127
	v_fmac_f16_e64 v35, -0.5, v131
	v_fmac_f16_e64 v122, -0.5, v130
	v_pack_b32_f16 v36, v36, v120
	v_pack_b32_f16 v38, v38, v117
	v_add_f16_e32 v115, v109, v113
	v_sub_f16_e32 v117, v124, v127
	v_add_f16_e32 v120, v110, v124
	v_fmac_f16_e32 v109, -0.5, v114
	v_sub_f16_e32 v113, v113, v111
	v_fmac_f16_e32 v110, -0.5, v116
	v_fma_f16 v41, 0x3aee, v133, v35
	v_fma_f16 v129, 0xbaee, v42, v122
	v_fmac_f16_e64 v35, 0xbaee, v133
	v_fmac_f16_e32 v122, 0x3aee, v42
	v_pack_b32_f16 v42, v135, v121
	v_add_f16_e32 v114, v115, v111
	v_add_f16_e32 v116, v120, v127
	v_fmamk_f16 v115, v117, 0x3aee, v109
	v_fmac_f16_e32 v109, 0xbaee, v117
	v_fmamk_f16 v117, v113, 0xbaee, v110
	v_fmac_f16_e32 v110, 0x3aee, v113
	v_pack_b32_f16 v112, v128, v126
	v_pack_b32_f16 v41, v41, v129
	;; [unrolled: 1-line block ×3, first 2 shown]
	ds_store_b32 v45, v42 offset:1080
	ds_store_b32 v45, v37 offset:2160
	ds_store_2addr_b32 v45, v40, v36 offset1:81
	ds_store_b32 v45, v39 offset:648
	ds_store_2addr_b32 v119, v112, v41 offset0:95 offset1:176
	ds_store_2addr_b32 v118, v38, v35 offset0:109 offset1:190
	s_and_saveexec_b32 s0, vcc_lo
	s_cbranch_execz .LBB0_19
; %bb.18:
	v_perm_b32 v35, v116, v114, 0x5040100
	v_perm_b32 v36, v117, v115, 0x5040100
	;; [unrolled: 1-line block ×3, first 2 shown]
	ds_store_b32 v45, v35 offset:972
	ds_store_b32 v45, v36 offset:2052
	;; [unrolled: 1-line block ×3, first 2 shown]
.LBB0_19:
	s_wait_alu 0xfffe
	s_or_b32 exec_lo, exec_lo, s0
	global_wb scope:SCOPE_SE
	s_wait_dscnt 0x0
	s_barrier_signal -1
	s_barrier_wait -1
	global_inv scope:SCOPE_SE
	global_load_b32 v35, v[8:9], off offset:3240
	s_add_nc_u64 s[0:1], s[16:17], 0xca8
	s_clause 0x7
	global_load_b32 v40, v45, s[0:1] offset:1080
	global_load_b32 v42, v45, s[0:1] offset:324
	global_load_b32 v113, v45, s[0:1] offset:2808
	global_load_b32 v120, v45, s[0:1] offset:2160
	global_load_b32 v121, v45, s[0:1] offset:1404
	global_load_b32 v122, v45, s[0:1] offset:2484
	global_load_b32 v123, v45, s[0:1] offset:1728
	global_load_b32 v124, v45, s[0:1] offset:648
	ds_load_2addr_b32 v[36:37], v45 offset1:81
	ds_load_b32 v125, v45 offset:2808
	v_add_nc_u32_e32 v126, 0x600, v45
	s_wait_dscnt 0x1
	v_lshrrev_b32_e32 v38, 16, v36
	v_lshrrev_b32_e32 v127, 16, v37
	s_wait_dscnt 0x0
	v_lshrrev_b32_e32 v128, 16, v125
	s_wait_loadcnt 0x7
	v_lshrrev_b32_e32 v129, 16, v40
	s_wait_loadcnt 0x6
	;; [unrolled: 2-line block ×4, first 2 shown]
	v_lshrrev_b32_e32 v132, 16, v120
	v_lshrrev_b32_e32 v39, 16, v35
	s_wait_loadcnt 0x3
	v_lshrrev_b32_e32 v135, 16, v121
	v_mul_f16_e64 v133, v127, v130
	v_mul_f16_e64 v130, v37, v130
	;; [unrolled: 1-line block ×3, first 2 shown]
	v_mul_f16_e32 v41, v38, v39
	v_mul_f16_e32 v39, v36, v39
	v_mul_f16_e64 v131, v125, v131
	v_fma_f16 v37, v37, v42, -v133
	v_fmac_f16_e64 v130, v127, v42
	v_fma_f16 v111, v36, v35, -v41
	v_fmac_f16_e32 v39, v38, v35
	v_add_nc_u32_e32 v35, 0x200, v45
	v_add_nc_u32_e32 v36, 0x800, v45
	;; [unrolled: 1-line block ×3, first 2 shown]
	v_fma_f16 v42, v125, v113, -v134
	v_pack_b32_f16 v38, v111, v39
	v_fmac_f16_e64 v131, v128, v113
	v_pack_b32_f16 v37, v37, v130
	s_wait_loadcnt 0x0
	v_lshrrev_b32_e32 v125, 16, v124
	v_lshrrev_b32_e32 v113, 16, v122
	ds_store_b32 v45, v38
	ds_load_2addr_b32 v[38:39], v35 offset0:34 offset1:142
	ds_load_2addr_b32 v[111:112], v36 offset0:28 offset1:109
	;; [unrolled: 1-line block ×3, first 2 shown]
	v_pack_b32_f16 v42, v42, v131
	v_lshrrev_b32_e32 v127, 16, v123
	s_wait_dscnt 0x2
	v_lshrrev_b32_e32 v128, 16, v39
	v_mul_f16_e64 v130, v39, v129
	s_wait_dscnt 0x1
	v_lshrrev_b32_e32 v131, 16, v111
	v_mul_f16_e64 v133, v111, v132
	s_wait_dscnt 0x0
	v_lshrrev_b32_e32 v134, 16, v118
	v_lshrrev_b32_e32 v139, 16, v38
	;; [unrolled: 1-line block ×4, first 2 shown]
	v_mul_f16_e64 v136, v118, v135
	v_mul_f16_e64 v129, v128, v129
	v_fmac_f16_e64 v130, v128, v40
	v_mul_f16_e64 v128, v131, v132
	v_fmac_f16_e64 v133, v131, v120
	v_mul_f16_e64 v131, v134, v135
	v_mul_f16_e64 v140, v38, v125
	;; [unrolled: 1-line block ×7, first 2 shown]
	v_fmac_f16_e64 v136, v134, v121
	v_fma_f16 v39, v39, v40, -v129
	v_fma_f16 v40, v111, v120, -v128
	;; [unrolled: 1-line block ×3, first 2 shown]
	v_fmac_f16_e64 v140, v139, v124
	v_fma_f16 v38, v38, v124, -v125
	v_fmac_f16_e64 v142, v141, v123
	v_fma_f16 v112, v112, v122, -v113
	v_fma_f16 v113, v119, v123, -v127
	v_fmac_f16_e64 v138, v137, v122
	v_pack_b32_f16 v39, v39, v130
	v_pack_b32_f16 v111, v111, v136
	;; [unrolled: 1-line block ×6, first 2 shown]
	ds_store_2addr_b32 v41, v39, v111 offset0:14 offset1:95
	ds_store_2addr_b32 v45, v37, v38 offset0:81 offset1:162
	;; [unrolled: 1-line block ×4, first 2 shown]
	s_and_saveexec_b32 s2, vcc_lo
	s_cbranch_execz .LBB0_21
; %bb.20:
	s_wait_alu 0xfffe
	v_add_co_u32 v37, s0, s0, v45
	s_wait_alu 0xf1ff
	v_add_co_ci_u32_e64 v38, null, s1, 0, s0
	s_clause 0x2
	global_load_b32 v39, v[37:38], off offset:972
	global_load_b32 v40, v[37:38], off offset:2052
	;; [unrolled: 1-line block ×3, first 2 shown]
	ds_load_b32 v38, v45 offset:972
	ds_load_b32 v42, v45 offset:2052
	;; [unrolled: 1-line block ×3, first 2 shown]
	s_wait_dscnt 0x2
	v_lshrrev_b32_e32 v112, 16, v38
	s_wait_dscnt 0x1
	v_lshrrev_b32_e32 v118, 16, v42
	;; [unrolled: 2-line block ×3, first 2 shown]
	s_wait_loadcnt 0x2
	v_lshrrev_b32_e32 v113, 16, v39
	s_wait_loadcnt 0x1
	v_lshrrev_b32_e32 v119, 16, v40
	;; [unrolled: 2-line block ×3, first 2 shown]
	v_mul_f16_e32 v122, v112, v113
	v_mul_f16_e32 v113, v38, v113
	;; [unrolled: 1-line block ×6, first 2 shown]
	v_fma_f16 v38, v38, v39, -v122
	v_fmac_f16_e32 v113, v112, v39
	v_fma_f16 v39, v42, v40, -v123
	v_fmac_f16_e32 v119, v118, v40
	;; [unrolled: 2-line block ×3, first 2 shown]
	v_pack_b32_f16 v37, v38, v113
	s_delay_alu instid0(VALU_DEP_4) | instskip(NEXT) | instid1(VALU_DEP_3)
	v_pack_b32_f16 v38, v39, v119
	v_pack_b32_f16 v39, v40, v121
	ds_store_b32 v45, v37 offset:972
	ds_store_b32 v45, v38 offset:2052
	;; [unrolled: 1-line block ×3, first 2 shown]
.LBB0_21:
	s_wait_alu 0xfffe
	s_or_b32 exec_lo, exec_lo, s2
	global_wb scope:SCOPE_SE
	s_wait_dscnt 0x0
	s_barrier_signal -1
	s_barrier_wait -1
	global_inv scope:SCOPE_SE
	ds_load_2addr_b32 v[39:40], v45 offset1:81
	ds_load_2addr_b32 v[37:38], v35 offset0:34 offset1:142
	ds_load_2addr_b32 v[35:36], v36 offset0:28 offset1:109
	;; [unrolled: 1-line block ×3, first 2 shown]
	ds_load_b32 v118, v45 offset:2808
	s_and_saveexec_b32 s0, vcc_lo
	s_cbranch_execz .LBB0_23
; %bb.22:
	ds_load_b32 v114, v45 offset:972
	ds_load_b32 v115, v45 offset:2052
	;; [unrolled: 1-line block ×3, first 2 shown]
	s_wait_dscnt 0x2
	v_lshrrev_b32_e32 v116, 16, v114
	s_wait_dscnt 0x1
	v_lshrrev_b32_e32 v117, 16, v115
	;; [unrolled: 2-line block ×3, first 2 shown]
.LBB0_23:
	s_wait_alu 0xfffe
	s_or_b32 exec_lo, exec_lo, s0
	v_add_f16_e32 v111, v115, v109
	s_delay_alu instid0(VALU_DEP_2)
	v_add_f16_e32 v112, v117, v110
	v_sub_f16_e32 v121, v117, v110
	s_wait_dscnt 0x2
	v_pk_add_f16 v124, v38, v35
	v_pk_add_f16 v125, v38, v35 neg_lo:[0,1] neg_hi:[0,1]
	v_fma_f16 v111, -0.5, v111, v114
	v_pk_add_f16 v119, v39, v38
	v_sub_f16_e32 v123, v115, v109
	v_fma_f16 v112, -0.5, v112, v116
	v_pk_fma_f16 v39, v124, 0.5, v39 op_sel_hi:[1,0,1] neg_lo:[1,0,0] neg_hi:[1,0,0]
	v_fmamk_f16 v113, v121, 0xbaee, v111
	v_fmac_f16_e32 v111, 0x3aee, v121
	v_pk_mul_f16 v121, 0x3aee, v125 op_sel_hi:[0,1]
	s_wait_dscnt 0x1
	v_pk_add_f16 v120, v40, v41
	v_pk_add_f16 v124, v41, v36
	v_pk_add_f16 v41, v41, v36 neg_lo:[0,1] neg_hi:[0,1]
	v_pk_add_f16 v122, v37, v42
	v_fmamk_f16 v38, v123, 0x3aee, v112
	v_fmac_f16_e32 v112, 0xbaee, v123
	v_pk_add_f16 v123, v39, v121 op_sel:[0,1] op_sel_hi:[1,0] neg_lo:[0,1] neg_hi:[0,1]
	v_pk_add_f16 v39, v39, v121 op_sel:[0,1] op_sel_hi:[1,0]
	s_wait_dscnt 0x0
	v_pk_add_f16 v121, v42, v118
	v_pk_add_f16 v42, v42, v118 neg_lo:[0,1] neg_hi:[0,1]
	v_pk_fma_f16 v40, v124, 0.5, v40 op_sel_hi:[1,0,1] neg_lo:[1,0,0] neg_hi:[1,0,0]
	v_pk_mul_f16 v41, 0x3aee, v41 op_sel_hi:[0,1]
	v_pk_add_f16 v35, v119, v35
	v_pk_fma_f16 v37, v121, 0.5, v37 op_sel_hi:[1,0,1] neg_lo:[1,0,0] neg_hi:[1,0,0]
	v_pk_mul_f16 v42, 0x3aee, v42 op_sel_hi:[0,1]
	v_bfi_b32 v119, 0xffff, v123, v39
	v_pk_add_f16 v121, v40, v41 op_sel:[0,1] op_sel_hi:[1,0] neg_lo:[0,1] neg_hi:[0,1]
	v_pk_add_f16 v40, v40, v41 op_sel:[0,1] op_sel_hi:[1,0]
	v_bfi_b32 v39, 0xffff, v39, v123
	v_pk_add_f16 v41, v37, v42 op_sel:[0,1] op_sel_hi:[1,0] neg_lo:[0,1] neg_hi:[0,1]
	v_pk_add_f16 v37, v37, v42 op_sel:[0,1] op_sel_hi:[1,0]
	v_pk_add_f16 v36, v120, v36
	v_bfi_b32 v42, 0xffff, v121, v40
	v_bfi_b32 v40, 0xffff, v40, v121
	v_pk_add_f16 v118, v122, v118
	v_bfi_b32 v120, 0xffff, v41, v37
	global_wb scope:SCOPE_SE
	s_barrier_signal -1
	s_barrier_wait -1
	global_inv scope:SCOPE_SE
	v_bfi_b32 v37, 0xffff, v37, v41
	ds_store_2addr_b32 v67, v35, v119 offset1:1
	ds_store_b32 v67, v39 offset:8
	ds_store_2addr_b32 v68, v36, v42 offset1:1
	ds_store_b32 v68, v40 offset:8
	;; [unrolled: 2-line block ×3, first 2 shown]
	s_and_saveexec_b32 s0, vcc_lo
	s_cbranch_execz .LBB0_25
; %bb.24:
	v_add_f16_e32 v35, v116, v117
	v_add_f16_e32 v36, v114, v115
	v_lshlrev_b32_e32 v37, 2, v69
	v_perm_b32 v39, v38, v113, 0x5040100
	s_delay_alu instid0(VALU_DEP_4) | instskip(NEXT) | instid1(VALU_DEP_4)
	v_add_f16_e32 v35, v35, v110
	v_add_f16_e32 v36, v36, v109
	s_delay_alu instid0(VALU_DEP_1)
	v_pack_b32_f16 v35, v36, v35
	v_perm_b32 v36, v112, v111, 0x5040100
	ds_store_2addr_b32 v37, v35, v39 offset1:1
	ds_store_b32 v37, v36 offset:8
.LBB0_25:
	s_wait_alu 0xfffe
	s_or_b32 exec_lo, exec_lo, s0
	global_wb scope:SCOPE_SE
	s_wait_dscnt 0x0
	s_barrier_signal -1
	s_barrier_wait -1
	global_inv scope:SCOPE_SE
	ds_load_2addr_b32 v[35:36], v45 offset1:81
	ds_load_2addr_b32 v[39:40], v45 offset0:162 offset1:243
	v_add_nc_u32_e32 v37, 0x400, v45
	v_add_nc_u32_e32 v67, 0x600, v45
	;; [unrolled: 1-line block ×3, first 2 shown]
	ds_load_2addr_b32 v[41:42], v37 offset0:68 offset1:149
	ds_load_2addr_b32 v[67:68], v67 offset0:102 offset1:183
	;; [unrolled: 1-line block ×3, first 2 shown]
	global_wb scope:SCOPE_SE
	s_wait_dscnt 0x0
	s_barrier_signal -1
	s_barrier_wait -1
	global_inv scope:SCOPE_SE
	v_lshrrev_b32_e32 v114, 16, v36
	v_lshrrev_b32_e32 v115, 16, v39
	;; [unrolled: 1-line block ×3, first 2 shown]
	v_mul_f16_e32 v117, v85, v36
	v_mul_f16_e32 v118, v86, v39
	v_lshrrev_b32_e32 v120, 16, v41
	v_lshrrev_b32_e32 v121, 16, v42
	v_mul_f16_e32 v85, v85, v114
	v_mul_f16_e32 v86, v86, v115
	;; [unrolled: 1-line block ×3, first 2 shown]
	v_lshrrev_b32_e32 v122, 16, v67
	v_lshrrev_b32_e32 v123, 16, v68
	v_fma_f16 v114, v4, v114, -v117
	v_mul_f16_e32 v84, v84, v116
	v_fmac_f16_e32 v85, v4, v36
	v_fmac_f16_e32 v86, v5, v39
	v_fma_f16 v4, v5, v115, -v118
	v_mul_f16_e32 v5, v82, v120
	v_mul_f16_e32 v36, v82, v41
	;; [unrolled: 1-line block ×3, first 2 shown]
	v_lshrrev_b32_e32 v124, 16, v69
	v_fmac_f16_e32 v84, v6, v40
	v_fmac_f16_e32 v5, v7, v41
	v_fma_f16 v7, v7, v120, -v36
	v_mul_f16_e32 v36, v79, v42
	v_mul_f16_e32 v40, v78, v122
	v_fmac_f16_e32 v39, v0, v42
	v_mul_f16_e32 v41, v78, v67
	v_mul_f16_e32 v42, v77, v123
	v_lshrrev_b32_e32 v125, 16, v70
	v_fmac_f16_e32 v40, v1, v67
	v_fma_f16 v0, v0, v121, -v36
	v_fma_f16 v1, v1, v122, -v41
	v_fmac_f16_e32 v42, v2, v68
	v_mul_f16_e32 v41, v77, v68
	v_mul_f16_e32 v68, v76, v124
	;; [unrolled: 1-line block ×3, first 2 shown]
	v_add_f16_e32 v67, v5, v40
	v_mul_f16_e32 v76, v75, v125
	v_add_f16_e32 v77, v35, v86
	v_fmac_f16_e32 v68, v3, v69
	v_fma_f16 v36, v3, v124, -v36
	v_lshrrev_b32_e32 v110, 16, v35
	v_fma_f16 v67, -0.5, v67, v35
	v_fmac_f16_e32 v76, v66, v70
	v_add_f16_e32 v82, v86, v68
	v_sub_f16_e32 v78, v4, v36
	v_sub_f16_e32 v69, v7, v1
	v_mul_f16_e32 v70, v75, v70
	v_add_f16_e32 v3, v77, v5
	v_fmac_f16_e32 v35, -0.5, v82
	v_sub_f16_e32 v77, v86, v5
	v_sub_f16_e32 v79, v68, v40
	v_fma_f16 v2, v2, v123, -v41
	v_fmamk_f16 v41, v78, 0xbb9c, v67
	v_fma_f16 v66, v66, v125, -v70
	v_fmac_f16_e32 v67, 0x3b9c, v78
	v_fmamk_f16 v70, v69, 0x3b9c, v35
	v_add_f16_e32 v82, v110, v4
	v_fmac_f16_e32 v35, 0xbb9c, v69
	v_add_f16_e32 v3, v3, v40
	v_add_f16_e32 v75, v77, v79
	v_sub_f16_e32 v77, v5, v86
	v_sub_f16_e32 v79, v40, v68
	v_add_f16_e32 v115, v7, v1
	v_fmac_f16_e32 v41, 0xb8b4, v69
	v_fmac_f16_e32 v67, 0x38b4, v69
	;; [unrolled: 1-line block ×3, first 2 shown]
	v_add_f16_e32 v69, v82, v7
	v_fmac_f16_e32 v35, 0x38b4, v78
	v_add_f16_e32 v78, v4, v36
	v_add_f16_e32 v3, v3, v68
	;; [unrolled: 1-line block ×3, first 2 shown]
	v_fma_f16 v79, -0.5, v115, v110
	v_sub_f16_e32 v68, v86, v68
	v_add_f16_e32 v69, v69, v1
	v_sub_f16_e32 v5, v5, v40
	v_sub_f16_e32 v40, v4, v7
	;; [unrolled: 1-line block ×3, first 2 shown]
	v_fmac_f16_e32 v110, -0.5, v78
	v_sub_f16_e32 v4, v7, v4
	v_sub_f16_e32 v1, v1, v36
	v_add_f16_e32 v7, v85, v84
	v_fmac_f16_e32 v41, 0x34f2, v75
	v_fmac_f16_e32 v67, 0x34f2, v75
	v_fmamk_f16 v75, v68, 0x3b9c, v79
	v_fmac_f16_e32 v79, 0xbb9c, v68
	v_fmac_f16_e32 v70, 0x34f2, v77
	v_fmac_f16_e32 v35, 0x34f2, v77
	v_fmamk_f16 v77, v5, 0xbb9c, v110
	v_add_f16_e32 v1, v4, v1
	v_fmac_f16_e32 v110, 0x3b9c, v5
	v_add_f16_e32 v4, v7, v39
	v_fma_f16 v6, v6, v116, -v119
	v_fmac_f16_e32 v75, 0x38b4, v5
	v_fmac_f16_e32 v79, 0xb8b4, v5
	v_add_f16_e32 v5, v39, v42
	v_fmac_f16_e32 v77, 0x38b4, v68
	v_fmac_f16_e32 v110, 0xb8b4, v68
	v_add_f16_e32 v4, v4, v42
	v_add_f16_e32 v7, v84, v76
	;; [unrolled: 1-line block ×4, first 2 shown]
	v_fma_f16 v5, -0.5, v5, v85
	v_sub_f16_e32 v36, v6, v66
	v_fmac_f16_e32 v77, 0x34f2, v1
	v_fmac_f16_e32 v110, 0x34f2, v1
	v_add_f16_e32 v1, v4, v76
	v_sub_f16_e32 v4, v0, v2
	v_fmac_f16_e32 v85, -0.5, v7
	v_fmac_f16_e32 v75, 0x34f2, v40
	v_fmac_f16_e32 v79, 0x34f2, v40
	v_fmamk_f16 v7, v36, 0xbb9c, v5
	v_sub_f16_e32 v40, v84, v39
	v_sub_f16_e32 v68, v76, v42
	v_fmac_f16_e32 v5, 0x3b9c, v36
	v_fmamk_f16 v78, v4, 0x3b9c, v85
	v_fmac_f16_e32 v85, 0xbb9c, v4
	v_sub_f16_e32 v82, v39, v84
	v_sub_f16_e32 v86, v42, v76
	v_fmac_f16_e32 v7, 0xb8b4, v4
	v_add_f16_e32 v40, v40, v68
	v_fmac_f16_e32 v5, 0x38b4, v4
	v_add_f16_e32 v4, v0, v2
	v_fmac_f16_e32 v78, 0xb8b4, v36
	v_fmac_f16_e32 v85, 0x38b4, v36
	v_add_f16_e32 v36, v6, v66
	v_add_f16_e32 v68, v82, v86
	v_fmac_f16_e32 v7, 0x34f2, v40
	v_fmac_f16_e32 v5, 0x34f2, v40
	v_fma_f16 v4, -0.5, v4, v114
	v_sub_f16_e32 v40, v84, v76
	v_add_f16_e32 v76, v114, v6
	v_sub_f16_e32 v39, v39, v42
	v_fmac_f16_e32 v114, -0.5, v36
	v_fmac_f16_e32 v78, 0x34f2, v68
	v_fmac_f16_e32 v85, 0x34f2, v68
	v_fmamk_f16 v36, v40, 0x3b9c, v4
	v_sub_f16_e32 v42, v6, v0
	v_sub_f16_e32 v68, v66, v2
	v_fmamk_f16 v82, v39, 0xbb9c, v114
	v_sub_f16_e32 v6, v0, v6
	v_sub_f16_e32 v84, v2, v66
	v_fmac_f16_e32 v114, 0x3b9c, v39
	v_fmac_f16_e32 v4, 0xbb9c, v40
	;; [unrolled: 1-line block ×3, first 2 shown]
	v_add_f16_e32 v42, v42, v68
	v_fmac_f16_e32 v82, 0x38b4, v40
	v_add_f16_e32 v6, v6, v84
	v_fmac_f16_e32 v114, 0xb8b4, v40
	v_fmac_f16_e32 v4, 0xb8b4, v39
	v_add_f16_e32 v0, v76, v0
	v_fmac_f16_e32 v36, 0x34f2, v42
	v_fmac_f16_e32 v82, 0x34f2, v6
	;; [unrolled: 1-line block ×4, first 2 shown]
	v_add_f16_e32 v0, v0, v2
	v_mul_f16_e32 v2, 0xb8b4, v36
	v_mul_f16_e32 v36, 0x3a79, v36
	;; [unrolled: 1-line block ×8, first 2 shown]
	v_add_f16_e32 v0, v0, v66
	v_fmac_f16_e32 v2, 0x3a79, v7
	v_fmac_f16_e32 v36, 0x38b4, v7
	;; [unrolled: 1-line block ×8, first 2 shown]
	v_add_f16_e32 v42, v3, v1
	v_add_f16_e32 v66, v41, v2
	;; [unrolled: 1-line block ×10, first 2 shown]
	v_sub_f16_e32 v1, v3, v1
	v_sub_f16_e32 v0, v69, v0
	;; [unrolled: 1-line block ×10, first 2 shown]
	v_pack_b32_f16 v4, v42, v5
	v_pack_b32_f16 v5, v66, v7
	;; [unrolled: 1-line block ×10, first 2 shown]
	ds_store_2addr_b32 v65, v4, v5 offset1:3
	ds_store_2addr_b32 v65, v7, v42 offset0:6 offset1:9
	ds_store_2addr_b32 v65, v66, v0 offset0:12 offset1:15
	;; [unrolled: 1-line block ×4, first 2 shown]
	v_add_nc_u32_e32 v0, 0x200, v45
	global_wb scope:SCOPE_SE
	s_wait_dscnt 0x0
	s_barrier_signal -1
	s_barrier_wait -1
	global_inv scope:SCOPE_SE
	ds_load_2addr_b32 v[2:3], v45 offset1:81
	ds_load_2addr_b32 v[0:1], v0 offset0:34 offset1:142
	ds_load_2addr_b32 v[6:7], v109 offset0:28 offset1:109
	;; [unrolled: 1-line block ×3, first 2 shown]
	ds_load_b32 v37, v45 offset:2808
	s_and_saveexec_b32 s0, vcc_lo
	s_cbranch_execz .LBB0_27
; %bb.26:
	ds_load_b32 v35, v45 offset:972
	ds_load_b32 v113, v45 offset:2052
	;; [unrolled: 1-line block ×3, first 2 shown]
	s_wait_dscnt 0x2
	v_lshrrev_b32_e32 v36, 16, v35
	s_wait_dscnt 0x1
	v_lshrrev_b32_e32 v38, 16, v113
	;; [unrolled: 2-line block ×3, first 2 shown]
.LBB0_27:
	s_wait_alu 0xfffe
	s_or_b32 exec_lo, exec_lo, s0
	s_wait_dscnt 0x3
	v_lshrrev_b32_e32 v40, 16, v1
	s_wait_dscnt 0x2
	v_lshrrev_b32_e32 v41, 16, v6
	;; [unrolled: 2-line block ×3, first 2 shown]
	v_mul_f16_e32 v70, v94, v1
	v_lshrrev_b32_e32 v66, 16, v7
	v_mul_f16_e32 v68, v94, v40
	v_mul_f16_e32 v76, v92, v41
	v_lshrrev_b32_e32 v69, 16, v5
	s_wait_dscnt 0x0
	v_lshrrev_b32_e32 v75, 16, v37
	v_lshrrev_b32_e32 v39, 16, v2
	v_fmac_f16_e32 v68, v17, v1
	v_mul_f16_e32 v1, v92, v6
	v_fma_f16 v17, v17, v40, -v70
	v_mul_f16_e32 v40, v93, v65
	v_fmac_f16_e32 v76, v18, v6
	v_mul_f16_e32 v6, v93, v4
	v_fma_f16 v1, v18, v41, -v1
	v_mul_f16_e32 v18, v91, v66
	;; [unrolled: 4-line block ×6, first 2 shown]
	v_fmac_f16_e32 v13, v11, v113
	v_mul_f16_e32 v41, v88, v111
	v_fma_f16 v11, v11, v38, -v37
	v_add_f16_e32 v37, v68, v76
	v_fmac_f16_e32 v14, v12, v111
	v_add_f16_e32 v38, v2, v68
	v_fma_f16 v12, v12, v112, -v41
	v_add_f16_e32 v41, v17, v1
	v_fma_f16 v2, -0.5, v37, v2
	v_sub_f16_e32 v37, v17, v1
	v_add_f16_e32 v17, v39, v17
	v_lshrrev_b32_e32 v42, 16, v3
	v_fmac_f16_e32 v39, -0.5, v41
	v_sub_f16_e32 v41, v68, v76
	v_fmamk_f16 v65, v37, 0xbaee, v2
	v_add_f16_e32 v1, v17, v1
	v_add_f16_e32 v17, v40, v18
	v_fmac_f16_e32 v2, 0x3aee, v37
	v_fmamk_f16 v37, v41, 0x3aee, v39
	v_add_f16_e32 v66, v3, v40
	v_fmac_f16_e32 v39, 0xbaee, v41
	v_add_f16_e32 v41, v6, v4
	v_fmac_f16_e32 v3, -0.5, v17
	v_sub_f16_e32 v17, v6, v4
	v_add_f16_e32 v6, v42, v6
	v_add_f16_e32 v66, v66, v18
	v_fmac_f16_e32 v42, -0.5, v41
	v_sub_f16_e32 v18, v40, v18
	v_lshrrev_b32_e32 v67, 16, v0
	v_add_f16_e32 v4, v6, v4
	v_add_f16_e32 v6, v15, v16
	v_fmamk_f16 v40, v17, 0xbaee, v3
	v_fmac_f16_e32 v3, 0x3aee, v17
	v_fmamk_f16 v17, v18, 0x3aee, v42
	v_add_f16_e32 v41, v0, v15
	v_fmac_f16_e32 v42, 0xbaee, v18
	v_add_f16_e32 v18, v7, v5
	v_fmac_f16_e32 v0, -0.5, v6
	v_sub_f16_e32 v6, v7, v5
	v_add_f16_e32 v41, v41, v16
	v_add_f16_e32 v7, v67, v7
	v_fmac_f16_e32 v67, -0.5, v18
	v_sub_f16_e32 v15, v15, v16
	v_fmamk_f16 v16, v6, 0xbaee, v0
	v_fmac_f16_e32 v0, 0x3aee, v6
	v_add_f16_e32 v6, v13, v14
	v_add_f16_e32 v38, v38, v76
	;; [unrolled: 1-line block ×3, first 2 shown]
	v_fmamk_f16 v7, v15, 0x3aee, v67
	v_fmac_f16_e32 v67, 0xbaee, v15
	v_add_f16_e32 v15, v11, v12
	v_add_f16_e32 v18, v35, v13
	v_fmac_f16_e32 v35, -0.5, v6
	v_sub_f16_e32 v6, v11, v12
	v_add_f16_e32 v68, v36, v11
	v_fmac_f16_e32 v36, -0.5, v15
	v_sub_f16_e32 v15, v13, v14
	v_pack_b32_f16 v1, v38, v1
	v_fmamk_f16 v13, v6, 0xbaee, v35
	v_fmac_f16_e32 v35, 0x3aee, v6
	v_pack_b32_f16 v6, v65, v37
	v_add_f16_e32 v11, v18, v14
	v_add_f16_e32 v12, v68, v12
	v_fmamk_f16 v14, v15, 0x3aee, v36
	v_fmac_f16_e32 v36, 0xbaee, v15
	global_wb scope:SCOPE_SE
	s_barrier_signal -1
	s_barrier_wait -1
	global_inv scope:SCOPE_SE
	ds_store_2addr_b32 v72, v1, v6 offset1:30
	v_pack_b32_f16 v1, v2, v39
	v_pack_b32_f16 v2, v66, v4
	;; [unrolled: 1-line block ×7, first 2 shown]
	ds_store_b32 v72, v1 offset:240
	ds_store_2addr_b32 v74, v2, v4 offset1:30
	ds_store_b32 v74, v3 offset:240
	ds_store_2addr_b32 v73, v5, v6 offset1:30
	ds_store_b32 v73, v0 offset:240
	s_and_saveexec_b32 s0, vcc_lo
	s_cbranch_execz .LBB0_29
; %bb.28:
	v_lshlrev_b32_e32 v0, 2, v71
	v_perm_b32 v1, v12, v11, 0x5040100
	v_perm_b32 v2, v14, v13, 0x5040100
	;; [unrolled: 1-line block ×3, first 2 shown]
	s_delay_alu instid0(VALU_DEP_4)
	v_add_nc_u32_e32 v3, 0x800, v0
	ds_store_2addr_b32 v3, v1, v2 offset0:208 offset1:238
	ds_store_b32 v0, v4 offset:3120
.LBB0_29:
	s_wait_alu 0xfffe
	s_or_b32 exec_lo, exec_lo, s0
	v_add_nc_u32_e32 v0, 0x200, v45
	v_add_nc_u32_e32 v4, 0x800, v45
	;; [unrolled: 1-line block ×3, first 2 shown]
	global_wb scope:SCOPE_SE
	s_wait_dscnt 0x0
	s_barrier_signal -1
	s_barrier_wait -1
	global_inv scope:SCOPE_SE
	ds_load_2addr_b32 v[2:3], v45 offset1:81
	ds_load_2addr_b32 v[0:1], v0 offset0:34 offset1:142
	ds_load_2addr_b32 v[6:7], v4 offset0:28 offset1:109
	;; [unrolled: 1-line block ×3, first 2 shown]
	ds_load_b32 v15, v45 offset:2808
	s_and_saveexec_b32 s0, vcc_lo
	s_cbranch_execz .LBB0_31
; %bb.30:
	ds_load_b32 v11, v45 offset:972
	ds_load_b32 v13, v45 offset:2052
	;; [unrolled: 1-line block ×3, first 2 shown]
	s_wait_dscnt 0x2
	v_lshrrev_b32_e32 v12, 16, v11
	s_wait_dscnt 0x1
	v_lshrrev_b32_e32 v14, 16, v13
	;; [unrolled: 2-line block ×3, first 2 shown]
.LBB0_31:
	s_wait_alu 0xfffe
	s_or_b32 exec_lo, exec_lo, s0
	s_wait_dscnt 0x3
	v_lshrrev_b32_e32 v16, 16, v1
	s_wait_dscnt 0x2
	v_lshrrev_b32_e32 v18, 16, v6
	;; [unrolled: 2-line block ×3, first 2 shown]
	v_lshrrev_b32_e32 v39, 16, v7
	v_mul_f16_e32 v65, v101, v1
	v_mul_f16_e32 v41, v101, v16
	;; [unrolled: 1-line block ×3, first 2 shown]
	v_lshrrev_b32_e32 v42, 16, v5
	s_wait_dscnt 0x0
	v_lshrrev_b32_e32 v66, 16, v15
	v_fma_f16 v16, v23, v16, -v65
	v_fmac_f16_e32 v41, v23, v1
	v_mul_f16_e32 v1, v102, v6
	v_mul_f16_e32 v23, v108, v38
	v_fmac_f16_e32 v67, v24, v6
	v_mul_f16_e32 v6, v108, v4
	v_lshrrev_b32_e32 v17, 16, v2
	v_fma_f16 v1, v24, v18, -v1
	v_mul_f16_e32 v18, v105, v39
	v_fmac_f16_e32 v23, v27, v4
	v_mul_f16_e32 v4, v105, v7
	v_fma_f16 v6, v27, v38, -v6
	v_mul_f16_e32 v24, v106, v42
	v_fmac_f16_e32 v18, v28, v7
	v_mul_f16_e32 v7, v106, v5
	v_mul_f16_e32 v27, v103, v66
	v_lshrrev_b32_e32 v37, 16, v3
	v_fmac_f16_e32 v24, v25, v5
	v_mul_f16_e32 v5, v103, v15
	v_fma_f16 v7, v25, v42, -v7
	v_mul_f16_e32 v25, v107, v14
	v_fmac_f16_e32 v27, v26, v15
	v_mul_f16_e32 v15, v107, v13
	v_fma_f16 v5, v26, v66, -v5
	v_mul_f16_e32 v26, v104, v36
	v_fmac_f16_e32 v25, v21, v13
	v_mul_f16_e32 v13, v104, v35
	v_fma_f16 v14, v21, v14, -v15
	v_add_f16_e32 v15, v41, v67
	v_fmac_f16_e32 v26, v22, v35
	v_add_f16_e32 v21, v2, v41
	v_fma_f16 v22, v22, v36, -v13
	v_add_f16_e32 v13, v16, v1
	v_fma_f16 v2, -0.5, v15, v2
	v_sub_f16_e32 v15, v16, v1
	v_fma_f16 v4, v28, v39, -v4
	v_add_f16_e32 v16, v17, v16
	v_fmac_f16_e32 v17, -0.5, v13
	v_sub_f16_e32 v13, v41, v67
	v_fmamk_f16 v28, v15, 0xbaee, v2
	v_fmac_f16_e32 v2, 0x3aee, v15
	v_add_f16_e32 v15, v23, v18
	v_add_f16_e32 v1, v16, v1
	v_fmamk_f16 v35, v13, 0x3aee, v17
	v_add_f16_e32 v16, v3, v23
	v_fmac_f16_e32 v17, 0xbaee, v13
	v_add_f16_e32 v13, v6, v4
	v_fmac_f16_e32 v3, -0.5, v15
	v_sub_f16_e32 v15, v6, v4
	v_add_f16_e32 v6, v37, v6
	v_lshrrev_b32_e32 v40, 16, v0
	v_fmac_f16_e32 v37, -0.5, v13
	v_sub_f16_e32 v13, v23, v18
	v_add_f16_e32 v36, v16, v18
	v_add_f16_e32 v4, v6, v4
	;; [unrolled: 1-line block ×3, first 2 shown]
	v_fmamk_f16 v18, v15, 0xbaee, v3
	v_fmac_f16_e32 v3, 0x3aee, v15
	v_fmamk_f16 v23, v13, 0x3aee, v37
	v_add_f16_e32 v15, v0, v24
	v_fmac_f16_e32 v37, 0xbaee, v13
	v_add_f16_e32 v13, v7, v5
	v_fmac_f16_e32 v0, -0.5, v6
	v_sub_f16_e32 v6, v7, v5
	v_add_f16_e32 v7, v40, v7
	v_add_f16_e32 v21, v21, v67
	v_fmac_f16_e32 v40, -0.5, v13
	v_sub_f16_e32 v13, v24, v27
	v_fmamk_f16 v24, v6, 0xbaee, v0
	v_fmac_f16_e32 v0, 0x3aee, v6
	v_add_f16_e32 v6, v25, v26
	v_add_f16_e32 v38, v15, v27
	;; [unrolled: 1-line block ×3, first 2 shown]
	v_fmamk_f16 v7, v13, 0x3aee, v40
	v_fmac_f16_e32 v40, 0xbaee, v13
	v_add_f16_e32 v13, v14, v22
	v_add_f16_e32 v15, v11, v25
	v_fmac_f16_e32 v11, -0.5, v6
	v_sub_f16_e32 v6, v14, v22
	v_add_f16_e32 v14, v12, v14
	v_fmac_f16_e32 v12, -0.5, v13
	v_sub_f16_e32 v25, v25, v26
	v_add_f16_e32 v13, v15, v26
	v_fmamk_f16 v15, v6, 0xbaee, v11
	v_fmac_f16_e32 v11, 0x3aee, v6
	v_pack_b32_f16 v1, v21, v1
	v_pack_b32_f16 v6, v28, v35
	v_add_f16_e32 v14, v14, v22
	v_fmamk_f16 v16, v25, 0x3aee, v12
	v_fmac_f16_e32 v12, 0xbaee, v25
	global_wb scope:SCOPE_SE
	s_barrier_signal -1
	s_barrier_wait -1
	global_inv scope:SCOPE_SE
	ds_store_2addr_b32 v45, v1, v6 offset1:90
	v_pack_b32_f16 v1, v2, v17
	v_pack_b32_f16 v2, v36, v4
	;; [unrolled: 1-line block ×7, first 2 shown]
	ds_store_b32 v45, v1 offset:720
	ds_store_2addr_b32 v81, v2, v4 offset1:90
	ds_store_b32 v81, v3 offset:720
	ds_store_2addr_b32 v83, v5, v6 offset1:90
	ds_store_b32 v83, v0 offset:720
	s_and_saveexec_b32 s0, vcc_lo
	s_cbranch_execz .LBB0_33
; %bb.32:
	v_lshlrev_b32_e32 v0, 2, v80
	v_perm_b32 v1, v14, v13, 0x5040100
	v_perm_b32 v2, v16, v15, 0x5040100
	;; [unrolled: 1-line block ×3, first 2 shown]
	s_delay_alu instid0(VALU_DEP_4)
	v_add_nc_u32_e32 v3, 0x800, v0
	ds_store_2addr_b32 v3, v1, v2 offset0:28 offset1:118
	ds_store_b32 v0, v4 offset:2880
.LBB0_33:
	s_wait_alu 0xfffe
	s_or_b32 exec_lo, exec_lo, s0
	v_add_nc_u32_e32 v0, 0x200, v45
	v_add_nc_u32_e32 v17, 0x800, v45
	;; [unrolled: 1-line block ×3, first 2 shown]
	global_wb scope:SCOPE_SE
	s_wait_dscnt 0x0
	s_barrier_signal -1
	s_barrier_wait -1
	global_inv scope:SCOPE_SE
	ds_load_2addr_b32 v[2:3], v45 offset1:81
	ds_load_2addr_b32 v[0:1], v0 offset0:34 offset1:142
	ds_load_2addr_b32 v[6:7], v17 offset0:28 offset1:109
	;; [unrolled: 1-line block ×3, first 2 shown]
	ds_load_b32 v21, v45 offset:2808
	s_and_saveexec_b32 s0, vcc_lo
	s_cbranch_execz .LBB0_35
; %bb.34:
	ds_load_b32 v13, v45 offset:972
	ds_load_b32 v15, v45 offset:2052
	;; [unrolled: 1-line block ×3, first 2 shown]
	s_wait_dscnt 0x2
	v_lshrrev_b32_e32 v14, 16, v13
	s_wait_dscnt 0x1
	v_lshrrev_b32_e32 v16, 16, v15
	;; [unrolled: 2-line block ×3, first 2 shown]
.LBB0_35:
	s_wait_alu 0xfffe
	s_or_b32 exec_lo, exec_lo, s0
	s_wait_dscnt 0x3
	v_lshrrev_b32_e32 v23, 16, v1
	s_wait_dscnt 0x2
	v_lshrrev_b32_e32 v24, 16, v6
	;; [unrolled: 2-line block ×3, first 2 shown]
	v_mul_f16_e32 v37, v100, v1
	v_lshrrev_b32_e32 v27, 16, v7
	v_mul_f16_e32 v35, v100, v23
	v_mul_f16_e32 v39, v98, v24
	v_lshrrev_b32_e32 v36, 16, v5
	v_fma_f16 v23, v29, v23, -v37
	s_wait_dscnt 0x0
	v_lshrrev_b32_e32 v38, 16, v21
	v_fmac_f16_e32 v35, v29, v1
	v_mul_f16_e32 v1, v98, v6
	v_mul_f16_e32 v29, v99, v26
	v_fmac_f16_e32 v39, v30, v6
	v_mul_f16_e32 v6, v99, v4
	v_lshrrev_b32_e32 v22, 16, v2
	v_fma_f16 v1, v30, v24, -v1
	v_mul_f16_e32 v24, v97, v27
	v_fmac_f16_e32 v29, v33, v4
	v_mul_f16_e32 v4, v97, v7
	v_fma_f16 v6, v33, v26, -v6
	v_mul_f16_e32 v26, v96, v36
	v_fmac_f16_e32 v24, v34, v7
	v_mul_f16_e32 v7, v96, v5
	v_fma_f16 v4, v34, v27, -v4
	v_mul_f16_e32 v27, v95, v38
	v_add_f16_e32 v30, v35, v39
	v_fmac_f16_e32 v26, v31, v5
	v_fma_f16 v7, v31, v36, -v7
	v_add_f16_e32 v31, v23, v1
	v_mul_f16_e32 v5, v95, v21
	v_fmac_f16_e32 v27, v32, v21
	v_add_f16_e32 v21, v2, v35
	v_fma_f16 v2, -0.5, v30, v2
	v_sub_f16_e32 v30, v23, v1
	v_add_f16_e32 v23, v22, v23
	v_fmac_f16_e32 v22, -0.5, v31
	v_sub_f16_e32 v31, v35, v39
	v_lshrrev_b32_e32 v25, 16, v3
	v_fma_f16 v5, v32, v38, -v5
	v_add_f16_e32 v1, v23, v1
	v_add_f16_e32 v23, v29, v24
	v_fmamk_f16 v32, v30, 0xbaee, v2
	v_fmac_f16_e32 v2, 0x3aee, v30
	v_fmamk_f16 v30, v31, 0x3aee, v22
	v_add_f16_e32 v33, v3, v29
	v_fmac_f16_e32 v22, 0xbaee, v31
	v_add_f16_e32 v31, v6, v4
	v_fmac_f16_e32 v3, -0.5, v23
	v_sub_f16_e32 v23, v6, v4
	v_add_f16_e32 v6, v25, v6
	v_add_f16_e32 v33, v33, v24
	v_fmac_f16_e32 v25, -0.5, v31
	v_sub_f16_e32 v24, v29, v24
	v_lshrrev_b32_e32 v28, 16, v0
	v_add_f16_e32 v4, v6, v4
	v_add_f16_e32 v6, v26, v27
	v_fmamk_f16 v29, v23, 0xbaee, v3
	v_fmac_f16_e32 v3, 0x3aee, v23
	v_fmamk_f16 v23, v24, 0x3aee, v25
	v_fmac_f16_e32 v25, 0xbaee, v24
	v_add_f16_e32 v24, v7, v5
	v_add_f16_e32 v31, v0, v26
	v_fmac_f16_e32 v0, -0.5, v6
	v_sub_f16_e32 v6, v7, v5
	v_add_f16_e32 v7, v28, v7
	v_fmac_f16_e32 v28, -0.5, v24
	v_sub_f16_e32 v24, v26, v27
	v_add_f16_e32 v21, v21, v39
	v_add_f16_e32 v26, v31, v27
	;; [unrolled: 1-line block ×3, first 2 shown]
	v_fmamk_f16 v27, v6, 0xbaee, v0
	v_fmac_f16_e32 v0, 0x3aee, v6
	v_fmamk_f16 v6, v24, 0x3aee, v28
	v_fmac_f16_e32 v28, 0xbaee, v24
	v_pack_b32_f16 v7, v32, v30
	v_pack_b32_f16 v2, v2, v22
	;; [unrolled: 1-line block ×9, first 2 shown]
	ds_store_b32 v45, v7 offset:1080
	ds_store_b32 v45, v2 offset:2160
	ds_store_2addr_b32 v45, v1, v4 offset1:81
	ds_store_b32 v45, v5 offset:648
	ds_store_2addr_b32 v18, v21, v6 offset0:95 offset1:176
	ds_store_2addr_b32 v17, v3, v0 offset0:109 offset1:190
	s_and_saveexec_b32 s0, vcc_lo
	s_cbranch_execz .LBB0_37
; %bb.36:
	v_mul_f16_e32 v0, v44, v15
	v_mul_f16_e32 v1, v43, v11
	;; [unrolled: 1-line block ×4, first 2 shown]
	s_delay_alu instid0(VALU_DEP_4) | instskip(NEXT) | instid1(VALU_DEP_4)
	v_fma_f16 v0, v19, v16, -v0
	v_fma_f16 v1, v20, v12, -v1
	s_delay_alu instid0(VALU_DEP_4) | instskip(NEXT) | instid1(VALU_DEP_4)
	v_fmac_f16_e32 v2, v19, v15
	v_fmac_f16_e32 v3, v20, v11
	s_delay_alu instid0(VALU_DEP_4) | instskip(NEXT) | instid1(VALU_DEP_4)
	v_add_f16_e32 v7, v14, v0
	v_add_f16_e32 v4, v0, v1
	v_sub_f16_e32 v0, v0, v1
	s_delay_alu instid0(VALU_DEP_4)
	v_add_f16_e32 v6, v2, v3
	v_sub_f16_e32 v5, v2, v3
	v_add_f16_e32 v2, v13, v2
	v_fma_f16 v4, -0.5, v4, v14
	v_add_f16_e32 v1, v7, v1
	v_fma_f16 v6, -0.5, v6, v13
	s_delay_alu instid0(VALU_DEP_4) | instskip(NEXT) | instid1(VALU_DEP_4)
	v_add_f16_e32 v2, v2, v3
	v_fmamk_f16 v3, v5, 0xbaee, v4
	v_fmac_f16_e32 v4, 0x3aee, v5
	s_delay_alu instid0(VALU_DEP_4) | instskip(SKIP_2) | instid1(VALU_DEP_3)
	v_fmamk_f16 v5, v0, 0x3aee, v6
	v_fmac_f16_e32 v6, 0xbaee, v0
	v_pack_b32_f16 v0, v2, v1
	v_pack_b32_f16 v2, v5, v3
	s_delay_alu instid0(VALU_DEP_3)
	v_pack_b32_f16 v1, v6, v4
	ds_store_b32 v45, v0 offset:972
	ds_store_b32 v45, v1 offset:2052
	ds_store_b32 v45, v2 offset:3132
.LBB0_37:
	s_wait_alu 0xfffe
	s_or_b32 exec_lo, exec_lo, s0
	global_wb scope:SCOPE_SE
	s_wait_dscnt 0x0
	s_barrier_signal -1
	s_barrier_wait -1
	global_inv scope:SCOPE_SE
	ds_load_2addr_b32 v[4:5], v45 offset1:81
	v_add_nc_u32_e32 v0, 0x200, v45
	v_add_nc_u32_e32 v2, 0x800, v45
	s_mov_b32 s6, 0x30abee4d
	s_mov_b32 s7, 0x3f543a27
	v_mad_co_u64_u32 v[19:20], null, s8, v58, 0
	ds_load_2addr_b32 v[0:1], v0 offset0:34 offset1:142
	ds_load_2addr_b32 v[2:3], v2 offset0:28 offset1:109
	s_wait_dscnt 0x2
	v_lshrrev_b32_e32 v6, 16, v4
	v_mul_f16_e32 v7, v64, v4
	s_delay_alu instid0(VALU_DEP_2) | instskip(NEXT) | instid1(VALU_DEP_2)
	v_mul_f16_e32 v11, v64, v6
	v_fma_f16 v6, v60, v6, -v7
	s_wait_dscnt 0x1
	v_lshrrev_b32_e32 v13, 16, v1
	v_mul_f16_e32 v12, v63, v1
	s_wait_dscnt 0x0
	v_lshrrev_b32_e32 v15, 16, v2
	v_fmac_f16_e32 v11, v60, v4
	v_cvt_f32_f16_e32 v4, v6
	v_mul_f16_e32 v16, v63, v13
	s_delay_alu instid0(VALU_DEP_4) | instskip(NEXT) | instid1(VALU_DEP_4)
	v_mul_f16_e32 v17, v62, v15
	v_cvt_f32_f16_e32 v11, v11
	s_delay_alu instid0(VALU_DEP_4) | instskip(SKIP_4) | instid1(VALU_DEP_4)
	v_cvt_f64_f32_e32 v[6:7], v4
	v_fma_f16 v4, v61, v13, -v12
	v_fmac_f16_e32 v16, v61, v1
	v_fmac_f16_e32 v17, v59, v2
	v_cvt_f64_f32_e32 v[11:12], v11
	v_cvt_f32_f16_e32 v4, v4
	s_delay_alu instid0(VALU_DEP_4) | instskip(NEXT) | instid1(VALU_DEP_4)
	v_cvt_f32_f16_e32 v1, v16
	v_cvt_f32_f16_e32 v16, v17
	v_mad_co_u64_u32 v[17:18], null, s10, v10, 0
	s_delay_alu instid0(VALU_DEP_4) | instskip(SKIP_2) | instid1(VALU_DEP_2)
	v_cvt_f64_f32_e32 v[13:14], v4
	v_mul_f16_e32 v4, v62, v2
	v_cvt_f64_f32_e32 v[1:2], v1
	v_fma_f16 v4, v59, v15, -v4
	v_cvt_f64_f32_e32 v[15:16], v16
	s_delay_alu instid0(VALU_DEP_2) | instskip(NEXT) | instid1(VALU_DEP_1)
	v_cvt_f32_f16_e32 v4, v4
	v_cvt_f64_f32_e32 v[21:22], v4
	s_wait_alu 0xfffe
	v_mul_f64_e32 v[6:7], s[6:7], v[6:7]
	v_mul_f64_e32 v[11:12], s[6:7], v[11:12]
	;; [unrolled: 1-line block ×5, first 2 shown]
	v_and_or_b32 v6, 0x1ff, v7, v6
	v_and_or_b32 v11, 0x1ff, v12, v11
	v_bfe_u32 v27, v14, 20, 11
	v_mov_b32_e32 v4, v18
	v_bfe_u32 v29, v2, 20, 11
	v_mov_b32_e32 v18, v20
	v_and_or_b32 v13, 0x1ff, v14, v13
	v_sub_nc_u32_e32 v30, 0x3f1, v27
	v_add_nc_u32_e32 v27, 0xfffffc10, v27
	v_mad_co_u64_u32 v[23:24], null, s11, v10, v[4:5]
	v_sub_nc_u32_e32 v34, 0x3f1, v29
	v_add_nc_u32_e32 v29, 0xfffffc10, v29
	v_mad_co_u64_u32 v[24:25], null, s9, v58, v[18:19]
	v_and_or_b32 v1, 0x1ff, v2, v1
	v_and_or_b32 v15, 0x1ff, v16, v15
	v_mov_b32_e32 v18, v23
	v_lshrrev_b32_e32 v23, 8, v12
	v_lshrrev_b32_e32 v26, 8, v14
	;; [unrolled: 1-line block ×3, first 2 shown]
	v_mov_b32_e32 v20, v24
	v_lshlrev_b64_e32 v[17:18], 2, v[17:18]
	v_bfe_u32 v24, v12, 20, 11
	v_lshrrev_b32_e32 v12, 16, v12
	v_mul_f16_e32 v10, v57, v4
	v_lshlrev_b64_e32 v[19:20], 2, v[19:20]
	v_bfe_u32 v32, v16, 20, 11
	v_add_co_u32 v17, s0, s4, v17
	s_wait_alu 0xf1ff
	v_add_co_ci_u32_e64 v18, s0, s5, v18, s0
	v_sub_nc_u32_e32 v28, 0x3f1, v24
	s_delay_alu instid0(VALU_DEP_3) | instskip(SKIP_1) | instid1(VALU_DEP_3)
	v_add_co_u32 v17, s0, v17, v19
	s_wait_alu 0xf1ff
	v_add_co_ci_u32_e64 v18, s0, v18, v20, s0
	v_cmp_ne_u32_e64 s0, 0, v6
	v_mul_f64_e32 v[19:20], s[6:7], v[21:22]
	v_lshrrev_b32_e32 v21, 8, v7
	v_bfe_u32 v22, v7, 20, 11
	v_add_nc_u32_e32 v24, 0xfffffc10, v24
	s_wait_alu 0xf1ff
	v_cndmask_b32_e64 v6, 0, 1, s0
	v_cmp_ne_u32_e64 s0, 0, v11
	v_cmp_gt_i32_e64 s4, 1, v29
	v_sub_nc_u32_e32 v25, 0x3f1, v22
	v_add_nc_u32_e32 v22, 0xfffffc10, v22
	v_and_or_b32 v6, 0xffe, v21, v6
	s_wait_alu 0xf1ff
	v_cndmask_b32_e64 v11, 0, 1, s0
	v_cmp_ne_u32_e64 s0, 0, v13
	v_med3_i32 v21, v25, 0, 13
	v_lshrrev_b32_e32 v25, 8, v2
	v_lshl_or_b32 v33, v22, 12, v6
	v_and_or_b32 v11, 0xffe, v23, v11
	s_wait_alu 0xf1ff
	v_cndmask_b32_e64 v13, 0, 1, s0
	v_cmp_ne_u32_e64 s0, 0, v6
	v_med3_i32 v23, v28, 0, 13
	v_or_b32_e32 v28, 0x1000, v6
	v_lshl_or_b32 v35, v24, 12, v11
	v_and_or_b32 v13, 0xffe, v26, v13
	s_wait_alu 0xf1ff
	v_cndmask_b32_e64 v6, 0, 1, s0
	v_cmp_ne_u32_e64 s0, 0, v1
	v_med3_i32 v26, v30, 0, 13
	v_or_b32_e32 v30, 0x1000, v11
	v_lshrrev_b32_e32 v36, v21, v28
	v_lshl_or_b32 v37, v27, 12, v13
	s_wait_alu 0xf1ff
	v_cndmask_b32_e64 v1, 0, 1, s0
	v_cmp_ne_u32_e64 s0, 0, v15
	v_lshrrev_b32_e32 v38, v23, v30
	v_lshlrev_b32_e32 v21, v21, v36
	v_lshl_or_b32 v6, v6, 9, 0x7c00
	v_and_or_b32 v1, 0xffe, v25, v1
	s_wait_alu 0xf1ff
	v_cndmask_b32_e64 v15, 0, 1, s0
	v_lshlrev_b32_e32 v23, v23, v38
	v_cmp_ne_u32_e64 s0, 0, v11
	v_med3_i32 v25, v34, 0, 13
	v_or_b32_e32 v34, 0x1000, v13
	v_or_b32_e32 v39, 0x1000, v1
	v_lshl_or_b32 v40, v29, 12, v1
	s_wait_alu 0xf1ff
	v_cndmask_b32_e64 v11, 0, 1, s0
	v_cmp_ne_u32_e64 s0, 0, v1
	v_lshrrev_b32_e32 v41, v26, v34
	v_lshrrev_b32_e32 v7, 16, v7
	v_fmac_f16_e32 v10, v56, v5
	v_lshl_or_b32 v11, v11, 9, 0x7c00
	s_wait_alu 0xf1ff
	v_cndmask_b32_e64 v1, 0, 1, s0
	v_cmp_ne_u32_e64 s0, v21, v28
	v_lshlrev_b32_e32 v26, v26, v41
	v_lshrrev_b32_e32 v28, v25, v39
	v_lshrrev_b32_e32 v31, 8, v16
	v_lshl_or_b32 v1, v1, 9, 0x7c00
	s_wait_alu 0xf1ff
	v_cndmask_b32_e64 v21, 0, 1, s0
	v_cmp_ne_u32_e64 s0, v23, v30
	v_lshlrev_b32_e32 v25, v25, v28
	v_and_or_b32 v15, 0xffe, v31, v15
	v_lshrrev_b32_e32 v2, 16, v2
	v_or_b32_e32 v21, v36, v21
	s_wait_alu 0xf1ff
	v_cndmask_b32_e64 v23, 0, 1, s0
	v_cmp_ne_u32_e64 s0, v26, v34
	v_mul_f16_e32 v5, v57, v5
	v_lshrrev_b32_e32 v14, 16, v14
	v_lshrrev_b32_e32 v16, 16, v16
	v_or_b32_e32 v23, v38, v23
	s_wait_alu 0xf1ff
	v_cndmask_b32_e64 v26, 0, 1, s0
	v_cmp_gt_i32_e64 s0, 1, v22
	v_fma_f16 v4, v56, v4, -v5
	v_and_or_b32 v5, 0x1ff, v20, v19
	v_bfe_u32 v19, v20, 20, 11
	v_or_b32_e32 v26, v41, v26
	s_wait_alu 0xf1ff
	v_cndmask_b32_e64 v21, v33, v21, s0
	v_cmp_gt_i32_e64 s0, 1, v24
	v_cvt_f32_f16_e32 v4, v4
	s_delay_alu instid0(VALU_DEP_3) | instskip(SKIP_1) | instid1(VALU_DEP_3)
	v_and_b32_e32 v30, 7, v21
	s_wait_alu 0xf1ff
	v_cndmask_b32_e64 v23, v35, v23, s0
	v_cmp_ne_u32_e64 s0, v25, v39
	v_lshrrev_b32_e32 v21, 2, v21
	v_cmp_lt_i32_e64 s2, 5, v30
	s_delay_alu instid0(VALU_DEP_4)
	v_and_b32_e32 v33, 7, v23
	s_wait_alu 0xf1ff
	v_cndmask_b32_e64 v25, 0, 1, s0
	v_cmp_gt_i32_e64 s0, 1, v27
	v_lshrrev_b32_e32 v23, 2, v23
	v_cmp_eq_u32_e64 s3, 3, v30
	v_cmp_eq_u32_e64 s1, 3, v33
	v_or_b32_e32 v25, v28, v25
	s_wait_alu 0xf1ff
	v_cndmask_b32_e64 v26, v37, v26, s0
	v_cmp_lt_i32_e64 s0, 5, v33
	s_delay_alu instid0(VALU_DEP_3) | instskip(NEXT) | instid1(VALU_DEP_2)
	v_cndmask_b32_e64 v25, v40, v25, s4
	s_or_b32 s0, s1, s0
	s_wait_alu 0xfffe
	v_add_co_ci_u32_e64 v23, s0, 0, v23, s0
	s_or_b32 s0, s3, s2
	v_and_b32_e32 v28, 7, v25
	s_wait_alu 0xfffe
	v_add_co_ci_u32_e64 v21, s0, 0, v21, s0
	v_cmp_gt_i32_e64 s0, 31, v24
	v_cmp_eq_u32_e64 s2, 0x40f, v24
	v_cmp_eq_u32_e64 s1, 3, v28
	v_lshrrev_b32_e32 v25, 2, v25
	s_wait_alu 0xf1ff
	v_cndmask_b32_e64 v23, 0x7c00, v23, s0
	v_cmp_gt_i32_e64 s0, 31, v22
	s_delay_alu instid0(VALU_DEP_2) | instskip(SKIP_1) | instid1(VALU_DEP_2)
	v_cndmask_b32_e64 v11, v23, v11, s2
	s_wait_alu 0xf1ff
	v_cndmask_b32_e64 v21, 0x7c00, v21, s0
	v_cmp_lt_i32_e64 s0, 5, v28
	v_cmp_eq_u32_e64 s2, 0x40f, v22
	v_and_or_b32 v11, 0x8000, v12, v11
	v_and_b32_e32 v12, 7, v26
	s_delay_alu instid0(VALU_DEP_4) | instskip(NEXT) | instid1(VALU_DEP_3)
	s_or_b32 s0, s1, s0
	v_cndmask_b32_e64 v6, v21, v6, s2
	s_wait_alu 0xfffe
	v_add_co_ci_u32_e64 v21, s0, 0, v25, s0
	v_cmp_gt_i32_e64 s0, 31, v29
	v_cmp_eq_u32_e64 s1, 0x40f, v29
	v_and_or_b32 v6, 0x8000, v7, v6
	v_and_b32_e32 v11, 0xffff, v11
	s_mul_u64 s[2:3], s[8:9], 0x10e
	v_cndmask_b32_e64 v7, 0x7c00, v21, s0
	v_cmp_lt_i32_e64 s0, 5, v12
	s_wait_alu 0xfffe
	s_lshl_b64 s[12:13], s[2:3], 2
	v_lshl_or_b32 v21, v6, 16, v11
	v_sub_nc_u32_e32 v6, 0x3f1, v32
	v_cndmask_b32_e64 v1, v7, v1, s1
	v_cmp_eq_u32_e64 s1, 3, v12
	v_cvt_f32_f16_e32 v7, v10
	v_lshrrev_b32_e32 v10, 2, v26
	v_med3_i32 v12, v6, 0, 13
	v_or_b32_e32 v11, 0x1000, v15
	s_or_b32 s0, s1, s0
	v_cvt_f64_f32_e32 v[6:7], v7
	s_wait_alu 0xfffe
	v_add_co_ci_u32_e64 v10, s0, 0, v10, s0
	v_cmp_ne_u32_e64 s0, 0, v13
	v_lshrrev_b32_e32 v22, v12, v11
	v_and_or_b32 v1, 0x8000, v2, v1
	s_wait_alu 0xf1ff
	s_delay_alu instid0(VALU_DEP_3)
	v_cndmask_b32_e64 v13, 0, 1, s0
	v_cmp_gt_i32_e64 s0, 31, v27
	v_lshlrev_b32_e32 v2, v12, v22
	v_add_nc_u32_e32 v12, 0xfffffc10, v32
	v_and_b32_e32 v24, 0xffff, v1
	v_lshl_or_b32 v13, v13, 9, 0x7c00
	s_wait_alu 0xf1ff
	v_cndmask_b32_e64 v10, 0x7c00, v10, s0
	v_cmp_eq_u32_e64 s0, 0x40f, v27
	s_wait_alu 0xf1ff
	s_delay_alu instid0(VALU_DEP_1) | instskip(SKIP_3) | instid1(VALU_DEP_4)
	v_cndmask_b32_e64 v10, v10, v13, s0
	v_cmp_ne_u32_e64 s0, v2, v11
	v_lshrrev_b32_e32 v13, 8, v20
	v_lshrrev_b32_e32 v20, 16, v20
	v_and_or_b32 v10, 0x8000, v14, v10
	s_wait_alu 0xf1ff
	v_cndmask_b32_e64 v2, 0, 1, s0
	v_cmp_ne_u32_e64 s0, 0, v5
	v_cvt_f64_f32_e32 v[4:5], v4
	s_delay_alu instid0(VALU_DEP_3) | instskip(SKIP_1) | instid1(VALU_DEP_3)
	v_or_b32_e32 v2, v22, v2
	s_wait_alu 0xf1ff
	v_cndmask_b32_e64 v11, 0, 1, s0
	v_lshl_or_b32 v22, v12, 12, v15
	v_cmp_gt_i32_e64 s0, 1, v12
	s_delay_alu instid0(VALU_DEP_3) | instskip(SKIP_2) | instid1(VALU_DEP_3)
	v_and_or_b32 v23, 0xffe, v13, v11
	v_sub_nc_u32_e32 v11, 0x3f1, v19
	s_wait_alu 0xf1ff
	v_cndmask_b32_e64 v13, v22, v2, s0
	v_add_nc_u32_e32 v2, 0x400, v45
	v_mul_f64_e32 v[6:7], s[6:7], v[6:7]
	v_or_b32_e32 v14, 0x1000, v23
	v_med3_i32 v11, v11, 0, 13
	v_and_b32_e32 v22, 7, v13
	ds_load_2addr_b32 v[1:2], v2 offset0:95 offset1:176
	v_lshrrev_b32_e32 v25, v11, v14
	v_cmp_lt_i32_e64 s0, 5, v22
	v_cmp_eq_u32_e64 s1, 3, v22
	v_lshl_or_b32 v22, v10, 16, v24
	v_lshrrev_b32_e32 v10, 2, v13
	v_lshlrev_b32_e32 v11, v11, v25
	s_delay_alu instid0(VALU_DEP_4) | instskip(SKIP_1) | instid1(VALU_DEP_2)
	s_or_b32 s0, s1, s0
	s_wait_alu 0xfffe
	v_add_co_ci_u32_e64 v10, s0, 0, v10, s0
	s_delay_alu instid0(VALU_DEP_2) | instskip(SKIP_2) | instid1(VALU_DEP_2)
	v_cmp_ne_u32_e64 s0, v11, v14
	v_add_nc_u32_e32 v14, 0xfffffc10, v19
	s_wait_alu 0xf1ff
	v_cndmask_b32_e64 v11, 0, 1, s0
	v_cmp_ne_u32_e64 s0, 0, v15
	s_wait_dscnt 0x0
	v_lshrrev_b32_e32 v19, 16, v1
	v_mul_f64_e32 v[4:5], s[6:7], v[4:5]
	s_wait_alu 0xf1ff
	v_cndmask_b32_e64 v13, 0, 1, s0
	v_cmp_gt_i32_e64 s0, 31, v12
	s_delay_alu instid0(VALU_DEP_2) | instskip(SKIP_1) | instid1(VALU_DEP_2)
	v_lshl_or_b32 v13, v13, 9, 0x7c00
	s_wait_alu 0xf1ff
	v_cndmask_b32_e64 v15, 0x7c00, v10, s0
	v_or_b32_e32 v10, v25, v11
	v_lshl_or_b32 v11, v14, 12, v23
	v_cmp_gt_i32_e64 s0, 1, v14
	v_mul_f16_e32 v25, v55, v19
	v_and_or_b32 v6, 0x1ff, v7, v6
	s_wait_alu 0xf1ff
	s_delay_alu instid0(VALU_DEP_3)
	v_cndmask_b32_e64 v24, v11, v10, s0
	v_add_co_u32 v10, s0, v17, s12
	v_fmac_f16_e32 v25, v54, v1
	s_wait_alu 0xf1ff
	v_add_co_ci_u32_e64 v11, s0, s13, v18, s0
	v_cmp_eq_u32_e64 s0, 0x40f, v12
	v_and_b32_e32 v26, 7, v24
	v_cvt_f32_f16_e32 v12, v25
	v_cmp_ne_u32_e64 s2, 0, v6
	v_lshrrev_b32_e32 v25, 8, v7
	s_wait_alu 0xf1ff
	v_cndmask_b32_e64 v15, v15, v13, s0
	v_cmp_lt_i32_e64 s0, 5, v26
	v_cmp_eq_u32_e64 s1, 3, v26
	v_cvt_f64_f32_e32 v[12:13], v12
	v_cndmask_b32_e64 v6, 0, 1, s2
	v_and_or_b32 v16, 0x8000, v16, v15
	v_lshrrev_b32_e32 v15, 2, v24
	v_bfe_u32 v24, v7, 20, 11
	s_or_b32 s0, s1, s0
	v_and_or_b32 v6, 0xffe, v25, v6
	v_mul_f16_e32 v1, v55, v1
	s_wait_alu 0xfffe
	v_add_co_ci_u32_e64 v15, s0, 0, v15, s0
	v_sub_nc_u32_e32 v25, 0x3f1, v24
	v_cmp_ne_u32_e64 s0, 0, v23
	v_or_b32_e32 v26, 0x1000, v6
	v_fma_f16 v1, v54, v19, -v1
	v_and_or_b32 v4, 0x1ff, v5, v4
	v_med3_i32 v25, v25, 0, 13
	s_wait_alu 0xf1ff
	v_cndmask_b32_e64 v23, 0, 1, s0
	v_cmp_gt_i32_e64 s0, 31, v14
	v_cvt_f32_f16_e32 v1, v1
	v_lshrrev_b32_e32 v27, 8, v5
	v_lshrrev_b32_e32 v19, v25, v26
	v_lshl_or_b32 v23, v23, 9, 0x7c00
	s_wait_alu 0xf1ff
	v_cndmask_b32_e64 v15, 0x7c00, v15, s0
	v_cmp_eq_u32_e64 s0, 0x40f, v14
	v_add_nc_u32_e32 v24, 0xfffffc10, v24
	v_lshlrev_b32_e32 v25, v25, v19
	v_and_b32_e32 v16, 0xffff, v16
	s_clause 0x1
	global_store_b32 v[17:18], v21, off
	global_store_b32 v[10:11], v22, off
	s_wait_alu 0xf1ff
	v_cndmask_b32_e64 v23, v15, v23, s0
	v_cmp_ne_u32_e64 s0, 0, v4
	v_cvt_f64_f32_e32 v[14:15], v1
	v_bfe_u32 v1, v5, 20, 11
	v_lshrrev_b32_e32 v22, 16, v7
	v_and_or_b32 v20, 0x8000, v20, v23
	s_wait_alu 0xf1ff
	v_cndmask_b32_e64 v4, 0, 1, s0
	v_cmp_ne_u32_e64 s0, v25, v26
	v_sub_nc_u32_e32 v26, 0x3f1, v1
	v_add_nc_u32_e32 v1, 0xfffffc10, v1
	v_mul_f64_e32 v[12:13], s[6:7], v[12:13]
	v_and_or_b32 v4, 0xffe, v27, v4
	s_wait_alu 0xf1ff
	v_cndmask_b32_e64 v25, 0, 1, s0
	v_cmp_gt_i32_e64 s0, 1, v24
	v_med3_i32 v26, v26, 0, 13
	v_lshl_or_b32 v20, v20, 16, v16
	v_or_b32_e32 v27, 0x1000, v4
	v_or_b32_e32 v19, v19, v25
	v_lshl_or_b32 v25, v24, 12, v6
	v_lshl_or_b32 v18, v1, 12, v4
	v_lshrrev_b32_e32 v5, 16, v5
	v_lshrrev_b32_e32 v23, v26, v27
	s_wait_alu 0xf1ff
	v_cndmask_b32_e64 v19, v25, v19, s0
	v_add_co_u32 v10, s0, v10, s12
	s_delay_alu instid0(VALU_DEP_3) | instskip(SKIP_3) | instid1(VALU_DEP_3)
	v_lshlrev_b32_e32 v17, v26, v23
	s_wait_alu 0xf1ff
	v_add_co_ci_u32_e64 v11, s0, s13, v11, s0
	v_and_b32_e32 v16, 7, v19
	v_cmp_ne_u32_e64 s2, v17, v27
	s_delay_alu instid0(VALU_DEP_2)
	v_cmp_lt_i32_e64 s0, 5, v16
	v_cmp_eq_u32_e64 s1, 3, v16
	v_lshrrev_b32_e32 v16, 2, v19
	s_wait_alu 0xf1ff
	v_cndmask_b32_e64 v17, 0, 1, s2
	v_lshrrev_b32_e32 v19, 16, v3
	s_or_b32 s0, s1, s0
	v_mul_f64_e32 v[14:15], s[6:7], v[14:15]
	s_wait_alu 0xfffe
	v_add_co_ci_u32_e64 v16, s0, 0, v16, s0
	v_cmp_ne_u32_e64 s0, 0, v6
	v_or_b32_e32 v17, v23, v17
	v_and_or_b32 v12, 0x1ff, v13, v12
	s_wait_alu 0xf1ff
	s_delay_alu instid0(VALU_DEP_3) | instskip(SKIP_3) | instid1(VALU_DEP_4)
	v_cndmask_b32_e64 v6, 0, 1, s0
	v_cmp_gt_i32_e64 s0, 1, v1
	v_bfe_u32 v23, v13, 20, 11
	v_cmp_ne_u32_e64 s1, 0, v12
	v_lshl_or_b32 v6, v6, 9, 0x7c00
	s_wait_alu 0xf1ff
	v_cndmask_b32_e64 v17, v18, v17, s0
	v_mul_f16_e32 v18, v53, v19
	v_cmp_gt_i32_e64 s0, 31, v24
	v_cndmask_b32_e64 v12, 0, 1, s1
	s_delay_alu instid0(VALU_DEP_4) | instskip(NEXT) | instid1(VALU_DEP_4)
	v_and_b32_e32 v21, 7, v17
	v_fmac_f16_e32 v18, v52, v3
	s_wait_alu 0xf1ff
	v_cndmask_b32_e64 v16, 0x7c00, v16, s0
	v_cmp_eq_u32_e64 s0, 0x40f, v24
	v_lshrrev_b32_e32 v17, 2, v17
	v_cmp_eq_u32_e64 s1, 3, v21
	v_mul_f16_e32 v3, v53, v3
	s_wait_alu 0xf1ff
	v_cndmask_b32_e64 v16, v16, v6, s0
	v_cvt_f32_f16_e32 v6, v18
	v_cmp_lt_i32_e64 s0, 5, v21
	v_lshrrev_b32_e32 v18, 8, v13
	v_fma_f16 v3, v52, v19, -v3
	v_and_or_b32 v16, 0x8000, v22, v16
	v_cvt_f64_f32_e32 v[6:7], v6
	s_or_b32 s0, s1, s0
	v_and_or_b32 v12, 0xffe, v18, v12
	s_wait_alu 0xfffe
	v_add_co_ci_u32_e64 v17, s0, 0, v17, s0
	v_sub_nc_u32_e32 v18, 0x3f1, v23
	v_cmp_ne_u32_e64 s0, 0, v4
	v_or_b32_e32 v21, 0x1000, v12
	v_and_or_b32 v14, 0x1ff, v15, v14
	v_cvt_f32_f16_e32 v3, v3
	v_med3_i32 v18, v18, 0, 13
	s_wait_alu 0xf1ff
	v_cndmask_b32_e64 v4, 0, 1, s0
	v_cmp_gt_i32_e64 s0, 31, v1
	v_bfe_u32 v19, v15, 20, 11
	v_and_b32_e32 v16, 0xffff, v16
	v_lshrrev_b32_e32 v22, v18, v21
	v_lshl_or_b32 v4, v4, 9, 0x7c00
	s_wait_alu 0xf1ff
	v_cndmask_b32_e64 v17, 0x7c00, v17, s0
	v_cmp_eq_u32_e64 s0, 0x40f, v1
	v_lshrrev_b32_e32 v13, 16, v13
	s_wait_alu 0xf1ff
	s_delay_alu instid0(VALU_DEP_2)
	v_cndmask_b32_e64 v1, v17, v4, s0
	v_lshlrev_b32_e32 v17, v18, v22
	v_cmp_ne_u32_e64 s0, 0, v14
	v_cvt_f64_f32_e32 v[3:4], v3
	v_lshrrev_b32_e32 v18, 8, v15
	v_and_or_b32 v1, 0x8000, v5, v1
	s_wait_alu 0xf1ff
	v_cndmask_b32_e64 v14, 0, 1, s0
	v_cmp_ne_u32_e64 s0, v17, v21
	v_add_nc_u32_e32 v21, 0xfffffc10, v23
	v_lshl_or_b32 v24, v1, 16, v16
	s_delay_alu instid0(VALU_DEP_4)
	v_and_or_b32 v14, 0xffe, v18, v14
	s_wait_alu 0xf1ff
	v_cndmask_b32_e64 v17, 0, 1, s0
	v_sub_nc_u32_e32 v18, 0x3f1, v19
	v_mul_f64_e32 v[5:6], s[6:7], v[6:7]
	v_cmp_gt_i32_e64 s0, 1, v21
	v_or_b32_e32 v7, 0x1000, v14
	v_or_b32_e32 v17, v22, v17
	v_lshl_or_b32 v22, v21, 12, v12
	v_med3_i32 v18, v18, 0, 13
	s_wait_alu 0xf1ff
	s_delay_alu instid0(VALU_DEP_2) | instskip(NEXT) | instid1(VALU_DEP_2)
	v_cndmask_b32_e64 v17, v22, v17, s0
	v_lshrrev_b32_e32 v22, v18, v7
	s_movk_i32 s0, 0xfe35
	s_mov_b32 s1, -1
	s_delay_alu instid0(VALU_DEP_2)
	v_and_b32_e32 v23, 7, v17
	s_wait_alu 0xfffe
	s_mul_u64 s[0:1], s[8:9], s[0:1]
	v_lshlrev_b32_e32 v1, v18, v22
	s_wait_alu 0xfffe
	s_lshl_b64 s[4:5], s[0:1], 2
	v_lshrrev_b32_e32 v16, 2, v17
	v_cmp_lt_i32_e64 s0, 5, v23
	v_cmp_eq_u32_e64 s1, 3, v23
	v_lshrrev_b32_e32 v23, 16, v0
	v_cmp_ne_u32_e64 s2, v1, v7
	v_add_nc_u32_e32 v7, 0xfffffc10, v19
	s_delay_alu instid0(VALU_DEP_4) | instskip(NEXT) | instid1(VALU_DEP_3)
	s_or_b32 s0, s1, s0
	v_mul_f16_e32 v17, v51, v23
	s_wait_alu 0xfffe
	v_add_co_ci_u32_e64 v16, s0, 0, v16, s0
	v_cndmask_b32_e64 v1, 0, 1, s2
	v_cmp_ne_u32_e64 s0, 0, v12
	v_lshl_or_b32 v18, v7, 12, v14
	v_fmac_f16_e32 v17, v50, v0
	v_mul_f64_e32 v[3:4], s[6:7], v[3:4]
	v_or_b32_e32 v1, v22, v1
	s_wait_alu 0xf1ff
	v_cndmask_b32_e64 v12, 0, 1, s0
	v_cmp_gt_i32_e64 s0, 1, v7
	v_cvt_f32_f16_e32 v17, v17
	v_and_or_b32 v5, 0x1ff, v6, v5
	s_delay_alu instid0(VALU_DEP_4) | instskip(SKIP_4) | instid1(VALU_DEP_3)
	v_lshl_or_b32 v12, v12, 9, 0x7c00
	s_wait_alu 0xf1ff
	v_cndmask_b32_e64 v1, v18, v1, s0
	v_cmp_gt_i32_e64 s0, 31, v21
	v_cmp_ne_u32_e64 s1, 0, v5
	v_and_b32_e32 v25, 7, v1
	s_wait_alu 0xf1ff
	s_delay_alu instid0(VALU_DEP_3)
	v_cndmask_b32_e64 v22, 0x7c00, v16, s0
	v_cvt_f64_f32_e32 v[16:17], v17
	v_add_co_u32 v18, s0, v10, s4
	s_wait_alu 0xf1ff
	v_add_co_ci_u32_e64 v19, s0, s5, v11, s0
	v_cmp_eq_u32_e64 s0, 0x40f, v21
	v_cndmask_b32_e64 v5, 0, 1, s1
	v_cmp_eq_u32_e64 s1, 3, v25
	v_lshrrev_b32_e32 v1, 2, v1
	v_lshrrev_b32_e32 v21, 8, v6
	s_wait_alu 0xf1ff
	v_cndmask_b32_e64 v12, v22, v12, s0
	v_cmp_lt_i32_e64 s0, 5, v25
	v_bfe_u32 v22, v6, 20, 11
	s_clause 0x1
	global_store_b32 v[10:11], v20, off
	global_store_b32 v[18:19], v24, off
	v_and_or_b32 v5, 0xffe, v21, v5
	v_and_or_b32 v26, 0x8000, v13, v12
	s_or_b32 s0, s1, s0
	v_sub_nc_u32_e32 v21, 0x3f1, v22
	s_wait_alu 0xfffe
	v_add_co_ci_u32_e64 v1, s0, 0, v1, s0
	v_cmp_ne_u32_e64 s0, 0, v14
	v_or_b32_e32 v25, 0x1000, v5
	v_med3_i32 v21, v21, 0, 13
	v_and_or_b32 v3, 0x1ff, v4, v3
	v_bfe_u32 v27, v4, 20, 11
	s_wait_alu 0xf1ff
	v_cndmask_b32_e64 v14, 0, 1, s0
	v_cmp_gt_i32_e64 s0, 31, v7
	v_lshrrev_b32_e32 v12, v21, v25
	v_lshrrev_b32_e32 v6, 16, v6
	s_delay_alu instid0(VALU_DEP_4)
	v_lshl_or_b32 v14, v14, 9, 0x7c00
	s_wait_alu 0xf1ff
	v_cndmask_b32_e64 v1, 0x7c00, v1, s0
	v_cmp_eq_u32_e64 s0, 0x40f, v7
	v_lshlrev_b32_e32 v13, v21, v12
	v_lshrrev_b32_e32 v21, 8, v4
	v_lshrrev_b32_e32 v4, 16, v4
	s_wait_alu 0xf1ff
	v_cndmask_b32_e64 v7, v1, v14, s0
	v_cmp_ne_u32_e64 s0, 0, v3
	v_lshrrev_b32_e32 v14, 16, v15
	v_mul_f16_e32 v15, v51, v0
	v_mul_f64_e32 v[0:1], s[6:7], v[16:17]
	v_add_nc_u32_e32 v16, 0xfffffc10, v22
	s_wait_alu 0xf1ff
	v_cndmask_b32_e64 v3, 0, 1, s0
	v_cmp_ne_u32_e64 s0, v13, v25
	v_fma_f16 v15, v50, v23, -v15
	v_sub_nc_u32_e32 v17, 0x3f1, v27
	v_lshl_or_b32 v22, v16, 12, v5
	v_and_or_b32 v3, 0xffe, v21, v3
	s_wait_alu 0xf1ff
	v_cndmask_b32_e64 v13, 0, 1, s0
	v_cvt_f32_f16_e32 v15, v15
	v_med3_i32 v17, v17, 0, 13
	v_cmp_gt_i32_e64 s0, 1, v16
	v_or_b32_e32 v23, 0x1000, v3
	v_or_b32_e32 v21, v12, v13
	v_cvt_f64_f32_e32 v[12:13], v15
	v_and_or_b32 v7, 0x8000, v14, v7
	v_and_b32_e32 v14, 0xffff, v26
	v_cmp_eq_u32_e64 s2, 0x40f, v16
	s_wait_alu 0xf1ff
	v_cndmask_b32_e64 v15, v22, v21, s0
	v_lshrrev_b32_e32 v21, v17, v23
	v_add_co_u32 v10, s0, v18, s12
	v_lshl_or_b32 v20, v7, 16, v14
	s_delay_alu instid0(VALU_DEP_4) | instskip(NEXT) | instid1(VALU_DEP_4)
	v_and_b32_e32 v7, 7, v15
	v_lshlrev_b32_e32 v14, v17, v21
	s_wait_alu 0xf1ff
	v_add_co_ci_u32_e64 v11, s0, s13, v19, s0
	v_lshrrev_b32_e32 v17, 16, v2
	v_cmp_lt_i32_e64 s0, 5, v7
	v_cmp_ne_u32_e64 s1, v14, v23
	v_add_nc_u32_e32 v18, 0xfffffc10, v27
	s_delay_alu instid0(VALU_DEP_4) | instskip(SKIP_1) | instid1(VALU_DEP_3)
	v_mul_f16_e32 v19, v49, v17
	s_wait_alu 0xf1ff
	v_cndmask_b32_e64 v14, 0, 1, s1
	v_cmp_eq_u32_e64 s1, 3, v7
	v_lshrrev_b32_e32 v7, 2, v15
	v_lshl_or_b32 v15, v18, 12, v3
	v_and_or_b32 v0, 0x1ff, v1, v0
	v_or_b32_e32 v14, v21, v14
	s_or_b32 s0, s1, s0
	v_fmac_f16_e32 v19, v48, v2
	s_wait_alu 0xfffe
	v_add_co_ci_u32_e64 v7, s0, 0, v7, s0
	v_cmp_gt_i32_e64 s0, 1, v18
	v_lshrrev_b32_e32 v22, 8, v1
	v_cvt_f32_f16_e32 v19, v19
	s_wait_alu 0xf1ff
	s_delay_alu instid0(VALU_DEP_3) | instskip(SKIP_1) | instid1(VALU_DEP_3)
	v_cndmask_b32_e64 v21, v15, v14, s0
	v_cmp_ne_u32_e64 s0, 0, v0
	v_cvt_f64_f32_e32 v[14:15], v19
	v_mul_f64_e32 v[12:13], s[6:7], v[12:13]
	v_bfe_u32 v19, v1, 20, 11
	v_and_b32_e32 v23, 7, v21
	s_wait_alu 0xf1ff
	v_cndmask_b32_e64 v0, 0, 1, s0
	v_cmp_ne_u32_e64 s0, 0, v5
	v_lshrrev_b32_e32 v21, 2, v21
	v_lshrrev_b32_e32 v1, 16, v1
	v_cmp_eq_u32_e64 s1, 3, v23
	v_and_or_b32 v0, 0xffe, v22, v0
	s_wait_alu 0xf1ff
	v_cndmask_b32_e64 v5, 0, 1, s0
	v_cmp_gt_i32_e64 s0, 31, v16
	v_sub_nc_u32_e32 v22, 0x3f1, v19
	v_or_b32_e32 v24, 0x1000, v0
	s_delay_alu instid0(VALU_DEP_4) | instskip(SKIP_4) | instid1(VALU_DEP_3)
	v_lshl_or_b32 v5, v5, 9, 0x7c00
	s_wait_alu 0xf1ff
	v_cndmask_b32_e64 v7, 0x7c00, v7, s0
	v_cmp_lt_i32_e64 s0, 5, v23
	v_med3_i32 v22, v22, 0, 13
	v_cndmask_b32_e64 v5, v7, v5, s2
	s_delay_alu instid0(VALU_DEP_3) | instskip(NEXT) | instid1(VALU_DEP_2)
	s_or_b32 s0, s1, s0
	v_lshrrev_b32_e32 v7, v22, v24
	s_wait_alu 0xfffe
	v_add_co_ci_u32_e64 v16, s0, 0, v21, s0
	v_cmp_ne_u32_e64 s0, 0, v3
	v_and_or_b32 v6, 0x8000, v6, v5
	v_lshlrev_b32_e32 v21, v22, v7
	s_wait_alu 0xf1ff
	s_delay_alu instid0(VALU_DEP_3) | instskip(SKIP_2) | instid1(VALU_DEP_3)
	v_cndmask_b32_e64 v3, 0, 1, s0
	v_cmp_gt_i32_e64 s0, 31, v18
	v_and_b32_e32 v6, 0xffff, v6
	v_lshl_or_b32 v3, v3, 9, 0x7c00
	s_wait_alu 0xf1ff
	s_delay_alu instid0(VALU_DEP_3) | instskip(SKIP_3) | instid1(VALU_DEP_2)
	v_cndmask_b32_e64 v16, 0x7c00, v16, s0
	v_cmp_ne_u32_e64 s0, v21, v24
	v_and_or_b32 v12, 0x1ff, v13, v12
	s_wait_alu 0xf1ff
	v_cndmask_b32_e64 v5, 0, 1, s0
	v_cmp_eq_u32_e64 s0, 0x40f, v18
	v_add_nc_u32_e32 v18, 0xfffffc10, v19
	ds_load_b32 v19, v45 offset:2808
	v_or_b32_e32 v5, v7, v5
	v_mul_f16_e32 v7, v49, v2
	s_wait_alu 0xf1ff
	v_cndmask_b32_e64 v16, v16, v3, s0
	v_mul_f64_e32 v[2:3], s[6:7], v[14:15]
	v_lshl_or_b32 v14, v18, 12, v0
	v_cmp_gt_i32_e64 s0, 1, v18
	v_fma_f16 v7, v48, v17, -v7
	v_bfe_u32 v15, v13, 20, 11
	v_and_or_b32 v16, 0x8000, v4, v16
	s_wait_alu 0xf1ff
	v_cndmask_b32_e64 v14, v14, v5, s0
	v_cmp_ne_u32_e64 s0, 0, v12
	v_cvt_f32_f16_e32 v5, v7
	v_lshrrev_b32_e32 v7, 8, v13
	v_lshl_or_b32 v24, v16, 16, v6
	v_and_b32_e32 v17, 7, v14
	s_wait_alu 0xf1ff
	v_cndmask_b32_e64 v12, 0, 1, s0
	v_cvt_f64_f32_e32 v[4:5], v5
	s_wait_dscnt 0x0
	v_lshrrev_b32_e32 v21, 16, v19
	v_lshrrev_b32_e32 v6, 2, v14
	v_cmp_lt_i32_e64 s0, 5, v17
	v_and_or_b32 v12, 0xffe, v7, v12
	v_sub_nc_u32_e32 v7, 0x3f1, v15
	v_cmp_eq_u32_e64 s1, 3, v17
	v_mul_f16_e32 v23, v47, v21
	v_lshrrev_b32_e32 v13, 16, v13
	v_or_b32_e32 v22, 0x1000, v12
	v_med3_i32 v7, v7, 0, 13
	s_or_b32 s0, s1, s0
	v_fmac_f16_e32 v23, v46, v19
	s_wait_alu 0xfffe
	v_add_co_ci_u32_e64 v6, s0, 0, v6, s0
	v_lshrrev_b32_e32 v14, v7, v22
	v_cmp_ne_u32_e64 s0, 0, v0
	s_delay_alu instid0(VALU_DEP_2) | instskip(SKIP_1) | instid1(VALU_DEP_2)
	v_lshlrev_b32_e32 v16, v7, v14
	s_wait_alu 0xf1ff
	v_cndmask_b32_e64 v0, 0, 1, s0
	v_cvt_f32_f16_e32 v7, v23
	v_cmp_gt_i32_e64 s0, 31, v18
	v_and_or_b32 v2, 0x1ff, v3, v2
	v_bfe_u32 v23, v3, 20, 11
	v_lshl_or_b32 v0, v0, 9, 0x7c00
	s_wait_alu 0xf1ff
	v_cndmask_b32_e64 v17, 0x7c00, v6, s0
	v_cvt_f64_f32_e32 v[6:7], v7
	v_cmp_ne_u32_e64 s0, v16, v22
	v_add_nc_u32_e32 v22, 0xfffffc10, v15
	v_mul_f16_e32 v15, v47, v19
	v_lshrrev_b32_e32 v19, 8, v3
	v_lshrrev_b32_e32 v3, 16, v3
	s_wait_alu 0xf1ff
	v_cndmask_b32_e64 v16, 0, 1, s0
	v_cmp_ne_u32_e64 s0, 0, v2
	v_fma_f16 v15, v46, v21, -v15
	v_mul_f64_e32 v[4:5], s[6:7], v[4:5]
	s_delay_alu instid0(VALU_DEP_4)
	v_or_b32_e32 v14, v14, v16
	s_wait_alu 0xf1ff
	v_cndmask_b32_e64 v2, 0, 1, s0
	v_lshl_or_b32 v16, v22, 12, v12
	v_cmp_gt_i32_e64 s0, 1, v22
	v_cvt_f32_f16_e32 v15, v15
	s_delay_alu instid0(VALU_DEP_4)
	v_and_or_b32 v2, 0xffe, v19, v2
	v_sub_nc_u32_e32 v19, 0x3f1, v23
	s_wait_alu 0xf1ff
	v_cndmask_b32_e64 v21, v16, v14, s0
	v_cmp_eq_u32_e64 s0, 0x40f, v18
	v_cvt_f64_f32_e32 v[14:15], v15
	v_or_b32_e32 v25, 0x1000, v2
	v_med3_i32 v19, v19, 0, 13
	v_and_b32_e32 v18, 7, v21
	s_wait_alu 0xf1ff
	v_cndmask_b32_e64 v0, v17, v0, s0
	v_add_co_u32 v16, s0, v10, s12
	v_lshrrev_b32_e32 v26, v19, v25
	s_wait_alu 0xf1ff
	v_add_co_ci_u32_e64 v17, s0, s13, v11, s0
	v_cmp_lt_i32_e64 s0, 5, v18
	v_cmp_eq_u32_e64 s1, 3, v18
	v_lshrrev_b32_e32 v18, 2, v21
	v_lshlrev_b32_e32 v19, v19, v26
	v_and_or_b32 v27, 0x8000, v1, v0
	v_add_nc_u32_e32 v21, 0xfffffc10, v23
	s_or_b32 s0, s1, s0
	v_mul_f64_e32 v[0:1], s[6:7], v[6:7]
	s_wait_alu 0xfffe
	v_add_co_ci_u32_e64 v6, s0, 0, v18, s0
	v_cmp_ne_u32_e64 s2, v19, v25
	v_cmp_ne_u32_e64 s0, 0, v12
	v_lshl_or_b32 v18, v21, 12, v2
	s_wait_alu 0xf1ff
	s_delay_alu instid0(VALU_DEP_3) | instskip(NEXT) | instid1(VALU_DEP_3)
	v_cndmask_b32_e64 v19, 0, 1, s2
	v_cndmask_b32_e64 v7, 0, 1, s0
	v_cmp_gt_i32_e64 s0, 31, v22
	v_and_or_b32 v4, 0x1ff, v5, v4
	s_delay_alu instid0(VALU_DEP_4) | instskip(NEXT) | instid1(VALU_DEP_4)
	v_or_b32_e32 v12, v26, v19
	v_lshl_or_b32 v7, v7, 9, 0x7c00
	s_wait_alu 0xf1ff
	v_cndmask_b32_e64 v6, 0x7c00, v6, s0
	v_cmp_gt_i32_e64 s0, 1, v21
	s_wait_alu 0xf1ff
	s_delay_alu instid0(VALU_DEP_1) | instskip(SKIP_2) | instid1(VALU_DEP_3)
	v_cndmask_b32_e64 v12, v18, v12, s0
	v_cmp_eq_u32_e64 s0, 0x40f, v22
	v_lshrrev_b32_e32 v22, 8, v5
	v_and_b32_e32 v19, 7, v12
	s_wait_alu 0xf1ff
	s_delay_alu instid0(VALU_DEP_3)
	v_cndmask_b32_e64 v18, v6, v7, s0
	v_cmp_ne_u32_e64 s0, 0, v4
	v_mul_f64_e32 v[6:7], s[6:7], v[14:15]
	v_bfe_u32 v14, v5, 20, 11
	v_cmp_eq_u32_e64 s1, 3, v19
	v_lshrrev_b32_e32 v12, 2, v12
	s_wait_alu 0xf1ff
	v_cndmask_b32_e64 v4, 0, 1, s0
	v_cmp_lt_i32_e64 s0, 5, v19
	v_and_or_b32 v13, 0x8000, v13, v18
	v_and_b32_e32 v15, 0xffff, v27
	v_sub_nc_u32_e32 v18, 0x3f1, v14
	v_and_or_b32 v4, 0xffe, v22, v4
	s_or_b32 s0, s1, s0
	v_and_or_b32 v0, 0x1ff, v1, v0
	s_wait_alu 0xfffe
	v_add_co_ci_u32_e64 v12, s0, 0, v12, s0
	v_lshl_or_b32 v13, v13, 16, v15
	v_or_b32_e32 v15, 0x1000, v4
	v_med3_i32 v18, v18, 0, 13
	v_cmp_ne_u32_e64 s0, 0, v2
	v_lshrrev_b32_e32 v22, 8, v1
	v_bfe_u32 v23, v1, 20, 11
	v_add_nc_u32_e32 v14, 0xfffffc10, v14
	v_lshrrev_b32_e32 v19, v18, v15
	s_wait_alu 0xf1ff
	v_cndmask_b32_e64 v2, 0, 1, s0
	v_cmp_gt_i32_e64 s0, 31, v21
	v_lshrrev_b32_e32 v5, 16, v5
	v_lshrrev_b32_e32 v1, 16, v1
	v_lshlrev_b32_e32 v18, v18, v19
	v_lshl_or_b32 v2, v2, 9, 0x7c00
	s_wait_alu 0xf1ff
	v_cndmask_b32_e64 v12, 0x7c00, v12, s0
	v_cmp_ne_u32_e64 s0, 0, v0
	s_wait_alu 0xf1ff
	s_delay_alu instid0(VALU_DEP_1) | instskip(SKIP_3) | instid1(VALU_DEP_4)
	v_cndmask_b32_e64 v0, 0, 1, s0
	v_cmp_ne_u32_e64 s0, v18, v15
	v_sub_nc_u32_e32 v18, 0x3f1, v23
	v_and_or_b32 v6, 0x1ff, v7, v6
	v_and_or_b32 v0, 0xffe, v22, v0
	s_wait_alu 0xf1ff
	v_cndmask_b32_e64 v15, 0, 1, s0
	v_cmp_eq_u32_e64 s0, 0x40f, v21
	v_med3_i32 v18, v18, 0, 13
	v_lshrrev_b32_e32 v21, 8, v7
	v_bfe_u32 v22, v7, 20, 11
	s_wait_alu 0xf1ff
	v_cndmask_b32_e64 v2, v12, v2, s0
	v_or_b32_e32 v12, v19, v15
	v_lshl_or_b32 v15, v14, 12, v4
	v_or_b32_e32 v19, 0x1000, v0
	v_cmp_gt_i32_e64 s0, 1, v14
	v_and_or_b32 v2, 0x8000, v3, v2
	s_wait_alu 0xf1ff
	s_delay_alu instid0(VALU_DEP_2) | instskip(SKIP_2) | instid1(VALU_DEP_3)
	v_cndmask_b32_e64 v12, v15, v12, s0
	v_lshrrev_b32_e32 v15, v18, v19
	v_cmp_ne_u32_e64 s0, 0, v6
	v_and_b32_e32 v25, 7, v12
	s_delay_alu instid0(VALU_DEP_3) | instskip(SKIP_1) | instid1(VALU_DEP_3)
	v_lshlrev_b32_e32 v18, v18, v15
	s_wait_alu 0xf1ff
	v_cndmask_b32_e64 v6, 0, 1, s0
	v_lshrrev_b32_e32 v12, 2, v12
	v_cmp_lt_i32_e64 s0, 5, v25
	v_cmp_ne_u32_e64 s1, v18, v19
	s_delay_alu instid0(VALU_DEP_4)
	v_and_or_b32 v3, 0xffe, v21, v6
	v_sub_nc_u32_e32 v6, 0x3f1, v22
	v_add_nc_u32_e32 v21, 0xfffffc10, v23
	s_wait_alu 0xf1ff
	v_cndmask_b32_e64 v18, 0, 1, s1
	v_cmp_eq_u32_e64 s1, 3, v25
	v_or_b32_e32 v19, 0x1000, v3
	v_med3_i32 v6, v6, 0, 13
	v_lshl_or_b32 v23, v21, 12, v0
	v_or_b32_e32 v15, v15, v18
	s_or_b32 s0, s1, s0
	s_wait_alu 0xfffe
	v_add_co_ci_u32_e64 v12, s0, 0, v12, s0
	v_lshrrev_b32_e32 v18, v6, v19
	v_cmp_gt_i32_e64 s0, 1, v21
	s_delay_alu instid0(VALU_DEP_2) | instskip(SKIP_1) | instid1(VALU_DEP_2)
	v_lshlrev_b32_e32 v6, v6, v18
	s_wait_alu 0xf1ff
	v_cndmask_b32_e64 v15, v23, v15, s0
	v_cmp_ne_u32_e64 s0, 0, v4
	s_wait_alu 0xf1ff
	s_delay_alu instid0(VALU_DEP_1) | instskip(SKIP_3) | instid1(VALU_DEP_4)
	v_cndmask_b32_e64 v4, 0, 1, s0
	v_cmp_ne_u32_e64 s0, v6, v19
	v_add_nc_u32_e32 v19, 0xfffffc10, v22
	v_and_b32_e32 v22, 7, v15
	v_lshl_or_b32 v4, v4, 9, 0x7c00
	s_wait_alu 0xf1ff
	v_cndmask_b32_e64 v6, 0, 1, s0
	v_cmp_gt_i32_e64 s0, 31, v14
	v_cmp_gt_i32_e64 s2, 1, v19
	v_cmp_eq_u32_e64 s1, 3, v22
	s_delay_alu instid0(VALU_DEP_4) | instskip(SKIP_4) | instid1(VALU_DEP_3)
	v_or_b32_e32 v6, v18, v6
	v_lshl_or_b32 v18, v19, 12, v3
	s_wait_alu 0xf1ff
	v_cndmask_b32_e64 v12, 0x7c00, v12, s0
	v_cmp_lt_i32_e64 s0, 5, v22
	v_cndmask_b32_e64 v6, v18, v6, s2
	v_cmp_eq_u32_e64 s2, 0x40f, v14
	s_delay_alu instid0(VALU_DEP_3) | instskip(NEXT) | instid1(VALU_DEP_2)
	s_or_b32 s0, s1, s0
	v_and_b32_e32 v14, 7, v6
	s_delay_alu instid0(VALU_DEP_2)
	v_cndmask_b32_e64 v4, v12, v4, s2
	v_lshrrev_b32_e32 v12, 2, v15
	v_lshrrev_b32_e32 v6, 2, v6
	v_cmp_gt_i32_e64 s2, 31, v21
	v_cmp_eq_u32_e64 s1, 3, v14
	v_and_or_b32 v4, 0x8000, v5, v4
	s_wait_alu 0xfffe
	v_add_co_ci_u32_e64 v12, s0, 0, v12, s0
	v_cmp_ne_u32_e64 s0, 0, v0
	v_and_b32_e32 v5, 0xffff, v2
	s_wait_alu 0xf1ff
	s_delay_alu instid0(VALU_DEP_3) | instskip(NEXT) | instid1(VALU_DEP_3)
	v_cndmask_b32_e64 v12, 0x7c00, v12, s2
	v_cndmask_b32_e64 v0, 0, 1, s0
	v_cmp_lt_i32_e64 s0, 5, v14
	s_delay_alu instid0(VALU_DEP_2) | instskip(NEXT) | instid1(VALU_DEP_2)
	v_lshl_or_b32 v0, v0, 9, 0x7c00
	s_or_b32 s0, s1, s0
	s_wait_alu 0xfffe
	v_add_co_ci_u32_e64 v6, s0, 0, v6, s0
	v_cmp_ne_u32_e64 s0, 0, v3
	s_wait_alu 0xf1ff
	s_delay_alu instid0(VALU_DEP_1) | instskip(SKIP_1) | instid1(VALU_DEP_2)
	v_cndmask_b32_e64 v3, 0, 1, s0
	v_cmp_eq_u32_e64 s0, 0x40f, v21
	v_lshl_or_b32 v3, v3, 9, 0x7c00
	s_wait_alu 0xf1ff
	s_delay_alu instid0(VALU_DEP_2) | instskip(SKIP_1) | instid1(VALU_DEP_2)
	v_cndmask_b32_e64 v0, v12, v0, s0
	v_cmp_gt_i32_e64 s0, 31, v19
	v_and_or_b32 v0, 0x8000, v1, v0
	s_wait_alu 0xf1ff
	s_delay_alu instid0(VALU_DEP_2) | instskip(SKIP_1) | instid1(VALU_DEP_3)
	v_cndmask_b32_e64 v6, 0x7c00, v6, s0
	v_cmp_eq_u32_e64 s0, 0x40f, v19
	v_and_b32_e32 v0, 0xffff, v0
	s_wait_alu 0xf1ff
	s_delay_alu instid0(VALU_DEP_2)
	v_cndmask_b32_e64 v1, v6, v3, s0
	v_lshrrev_b32_e32 v6, 16, v7
	v_add_co_u32 v2, s0, v16, s4
	s_wait_alu 0xf1ff
	v_add_co_ci_u32_e64 v3, s0, s5, v17, s0
	v_lshl_or_b32 v7, v4, 16, v5
	v_and_or_b32 v1, 0x8000, v6, v1
	v_add_co_u32 v4, s0, v2, s12
	s_wait_alu 0xf1ff
	v_add_co_ci_u32_e64 v5, s0, s13, v3, s0
	s_delay_alu instid0(VALU_DEP_3) | instskip(NEXT) | instid1(VALU_DEP_3)
	v_lshl_or_b32 v6, v1, 16, v0
	v_add_co_u32 v0, s0, v4, s12
	s_wait_alu 0xf1ff
	s_delay_alu instid0(VALU_DEP_3)
	v_add_co_ci_u32_e64 v1, s0, s13, v5, s0
	global_store_b32 v[10:11], v20, off
	global_store_b32 v[16:17], v24, off
	;; [unrolled: 1-line block ×5, first 2 shown]
	s_and_b32 exec_lo, exec_lo, vcc_lo
	s_cbranch_execz .LBB0_39
; %bb.38:
	s_clause 0x2
	global_load_b32 v2, v[8:9], off offset:972
	global_load_b32 v4, v[8:9], off offset:2052
	;; [unrolled: 1-line block ×3, first 2 shown]
	ds_load_b32 v3, v45 offset:972
	ds_load_b32 v5, v45 offset:2052
	;; [unrolled: 1-line block ×3, first 2 shown]
	v_add_co_u32 v0, vcc_lo, v0, s4
	s_wait_alu 0xfffd
	v_add_co_ci_u32_e32 v1, vcc_lo, s5, v1, vcc_lo
	s_wait_dscnt 0x2
	v_lshrrev_b32_e32 v7, 16, v3
	s_wait_dscnt 0x1
	v_lshrrev_b32_e32 v11, 16, v5
	;; [unrolled: 2-line block ×3, first 2 shown]
	s_wait_loadcnt 0x2
	v_lshrrev_b32_e32 v9, 16, v2
	s_wait_loadcnt 0x1
	v_lshrrev_b32_e32 v12, 16, v4
	s_delay_alu instid0(VALU_DEP_2) | instskip(SKIP_1) | instid1(VALU_DEP_3)
	v_mul_f16_e32 v10, v7, v9
	v_mul_f16_e32 v9, v3, v9
	v_mul_f16_e32 v14, v11, v12
	s_delay_alu instid0(VALU_DEP_3) | instskip(NEXT) | instid1(VALU_DEP_3)
	v_fmac_f16_e32 v10, v3, v2
	v_fma_f16 v2, v2, v7, -v9
	s_wait_loadcnt 0x0
	v_lshrrev_b32_e32 v7, 16, v8
	v_mul_f16_e32 v9, v5, v12
	v_fmac_f16_e32 v14, v5, v4
	v_cvt_f32_f16_e32 v3, v10
	v_cvt_f32_f16_e32 v5, v2
	v_mul_f16_e32 v10, v13, v7
	v_fma_f16 v9, v4, v11, -v9
	v_cvt_f32_f16_e32 v11, v14
	v_cvt_f64_f32_e32 v[2:3], v3
	v_cvt_f64_f32_e32 v[4:5], v5
	v_mul_f16_e32 v12, v6, v7
	v_fmac_f16_e32 v10, v6, v8
	v_cvt_f32_f16_e32 v9, v9
	v_cvt_f64_f32_e32 v[6:7], v11
	v_add_co_u32 v14, vcc_lo, v0, s12
	v_fma_f16 v11, v8, v13, -v12
	v_cvt_f32_f16_e32 v10, v10
	v_cvt_f64_f32_e32 v[8:9], v9
	s_wait_alu 0xfffd
	v_add_co_ci_u32_e32 v15, vcc_lo, s13, v1, vcc_lo
	v_cvt_f32_f16_e32 v12, v11
	v_cvt_f64_f32_e32 v[10:11], v10
	s_delay_alu instid0(VALU_DEP_2)
	v_cvt_f64_f32_e32 v[12:13], v12
	v_mul_f64_e32 v[2:3], s[6:7], v[2:3]
	v_mul_f64_e32 v[4:5], s[6:7], v[4:5]
	;; [unrolled: 1-line block ×6, first 2 shown]
	v_and_or_b32 v2, 0x1ff, v3, v2
	v_and_or_b32 v4, 0x1ff, v5, v4
	v_lshrrev_b32_e32 v16, 8, v3
	v_bfe_u32 v17, v3, 20, 11
	v_lshrrev_b32_e32 v18, 8, v5
	v_cmp_ne_u32_e32 vcc_lo, 0, v2
	v_and_or_b32 v6, 0x1ff, v7, v6
	v_bfe_u32 v19, v5, 20, 11
	v_lshrrev_b32_e32 v20, 8, v7
	v_bfe_u32 v21, v7, 20, 11
	s_wait_alu 0xfffd
	v_cndmask_b32_e64 v2, 0, 1, vcc_lo
	v_cmp_ne_u32_e32 vcc_lo, 0, v4
	v_and_or_b32 v8, 0x1ff, v9, v8
	v_bfe_u32 v23, v9, 20, 11
	v_and_or_b32 v10, 0x1ff, v11, v10
	v_and_or_b32 v2, 0xffe, v16, v2
	s_wait_alu 0xfffd
	v_cndmask_b32_e64 v4, 0, 1, vcc_lo
	v_cmp_ne_u32_e32 vcc_lo, 0, v6
	v_and_or_b32 v12, 0x1ff, v13, v12
	v_sub_nc_u32_e32 v28, 0x3f1, v17
	v_add_nc_u32_e32 v17, 0xfffffc10, v17
	v_sub_nc_u32_e32 v29, 0x3f1, v19
	s_wait_alu 0xfffd
	v_cndmask_b32_e64 v6, 0, 1, vcc_lo
	v_cmp_ne_u32_e32 vcc_lo, 0, v8
	v_and_or_b32 v4, 0xffe, v18, v4
	v_lshrrev_b32_e32 v22, 8, v9
	v_bfe_u32 v25, v11, 20, 11
	v_bfe_u32 v27, v13, 20, 11
	s_wait_alu 0xfffd
	v_cndmask_b32_e64 v8, 0, 1, vcc_lo
	v_cmp_ne_u32_e32 vcc_lo, 0, v10
	v_add_nc_u32_e32 v19, 0xfffffc10, v19
	v_sub_nc_u32_e32 v30, 0x3f1, v21
	v_sub_nc_u32_e32 v31, 0x3f1, v23
	v_med3_i32 v16, v28, 0, 13
	s_wait_alu 0xfffd
	v_cndmask_b32_e64 v10, 0, 1, vcc_lo
	v_cmp_ne_u32_e32 vcc_lo, 0, v12
	v_med3_i32 v18, v29, 0, 13
	v_and_or_b32 v6, 0xffe, v20, v6
	v_or_b32_e32 v28, 0x1000, v2
	v_lshl_or_b32 v29, v17, 12, v2
	s_wait_alu 0xfffd
	v_cndmask_b32_e64 v12, 0, 1, vcc_lo
	v_cmp_ne_u32_e32 vcc_lo, 0, v2
	v_lshrrev_b32_e32 v24, 8, v11
	v_lshrrev_b32_e32 v26, 8, v13
	v_add_nc_u32_e32 v21, 0xfffffc10, v21
	v_sub_nc_u32_e32 v32, 0x3f1, v25
	s_wait_alu 0xfffd
	v_cndmask_b32_e64 v2, 0, 1, vcc_lo
	v_cmp_ne_u32_e32 vcc_lo, 0, v4
	v_sub_nc_u32_e32 v33, 0x3f1, v27
	v_med3_i32 v20, v30, 0, 13
	v_and_or_b32 v8, 0xffe, v22, v8
	v_med3_i32 v22, v31, 0, 13
	v_or_b32_e32 v30, 0x1000, v4
	v_lshl_or_b32 v31, v19, 12, v4
	s_wait_alu 0xfffd
	v_cndmask_b32_e64 v4, 0, 1, vcc_lo
	v_cmp_ne_u32_e32 vcc_lo, 0, v6
	v_add_nc_u32_e32 v23, 0xfffffc10, v23
	v_and_or_b32 v10, 0xffe, v24, v10
	v_med3_i32 v24, v32, 0, 13
	v_and_or_b32 v12, 0xffe, v26, v12
	v_med3_i32 v26, v33, 0, 13
	v_or_b32_e32 v32, 0x1000, v6
	v_lshl_or_b32 v33, v21, 12, v6
	s_wait_alu 0xfffd
	v_cndmask_b32_e64 v6, 0, 1, vcc_lo
	v_cmp_ne_u32_e32 vcc_lo, 0, v8
	v_add_nc_u32_e32 v25, 0xfffffc10, v25
	v_or_b32_e32 v34, 0x1000, v8
	v_lshl_or_b32 v35, v23, 12, v8
	v_lshrrev_b32_e32 v40, v16, v28
	s_wait_alu 0xfffd
	v_cndmask_b32_e64 v8, 0, 1, vcc_lo
	v_cmp_ne_u32_e32 vcc_lo, 0, v10
	v_add_nc_u32_e32 v27, 0xfffffc10, v27
	v_or_b32_e32 v36, 0x1000, v10
	v_lshl_or_b32 v37, v25, 12, v10
	v_lshrrev_b32_e32 v41, v18, v30
	s_wait_alu 0xfffd
	v_cndmask_b32_e64 v10, 0, 1, vcc_lo
	v_cmp_ne_u32_e32 vcc_lo, 0, v12
	v_lshlrev_b32_e32 v16, v16, v40
	v_or_b32_e32 v38, 0x1000, v12
	v_lshl_or_b32 v39, v27, 12, v12
	v_lshrrev_b32_e32 v42, v20, v32
	s_wait_alu 0xfffd
	v_cndmask_b32_e64 v12, 0, 1, vcc_lo
	v_lshlrev_b32_e32 v18, v18, v41
	v_cmp_ne_u32_e32 vcc_lo, v16, v28
	v_lshrrev_b32_e32 v43, v22, v34
	v_lshlrev_b32_e32 v20, v20, v42
	v_lshrrev_b32_e32 v44, v24, v36
	v_lshrrev_b32_e32 v45, v26, v38
	s_wait_alu 0xfffd
	v_cndmask_b32_e64 v16, 0, 1, vcc_lo
	v_cmp_ne_u32_e32 vcc_lo, v18, v30
	v_lshlrev_b32_e32 v22, v22, v43
	v_lshlrev_b32_e32 v24, v24, v44
	;; [unrolled: 1-line block ×3, first 2 shown]
	v_or_b32_e32 v16, v40, v16
	s_wait_alu 0xfffd
	v_cndmask_b32_e64 v18, 0, 1, vcc_lo
	v_cmp_ne_u32_e32 vcc_lo, v20, v32
	v_lshl_or_b32 v2, v2, 9, 0x7c00
	v_lshl_or_b32 v4, v4, 9, 0x7c00
	;; [unrolled: 1-line block ×3, first 2 shown]
	v_or_b32_e32 v18, v41, v18
	s_wait_alu 0xfffd
	v_cndmask_b32_e64 v20, 0, 1, vcc_lo
	v_cmp_ne_u32_e32 vcc_lo, v22, v34
	v_lshl_or_b32 v8, v8, 9, 0x7c00
	v_lshl_or_b32 v10, v10, 9, 0x7c00
	v_lshrrev_b32_e32 v3, 16, v3
	v_or_b32_e32 v20, v42, v20
	s_wait_alu 0xfffd
	v_cndmask_b32_e64 v22, 0, 1, vcc_lo
	v_cmp_ne_u32_e32 vcc_lo, v24, v36
	v_lshrrev_b32_e32 v7, 16, v7
	v_lshrrev_b32_e32 v5, 16, v5
	;; [unrolled: 1-line block ×3, first 2 shown]
	v_or_b32_e32 v22, v43, v22
	s_wait_alu 0xfffd
	v_cndmask_b32_e64 v24, 0, 1, vcc_lo
	v_cmp_ne_u32_e32 vcc_lo, v26, v38
	v_lshl_or_b32 v12, v12, 9, 0x7c00
	v_lshrrev_b32_e32 v9, 16, v9
	v_lshrrev_b32_e32 v13, 16, v13
	v_or_b32_e32 v24, v44, v24
	s_wait_alu 0xfffd
	v_cndmask_b32_e64 v26, 0, 1, vcc_lo
	v_cmp_gt_i32_e32 vcc_lo, 1, v17
	s_delay_alu instid0(VALU_DEP_2) | instskip(SKIP_3) | instid1(VALU_DEP_2)
	v_or_b32_e32 v26, v45, v26
	s_wait_alu 0xfffd
	v_cndmask_b32_e32 v16, v29, v16, vcc_lo
	v_cmp_gt_i32_e32 vcc_lo, 1, v19
	v_and_b32_e32 v28, 7, v16
	s_wait_alu 0xfffd
	v_cndmask_b32_e32 v18, v31, v18, vcc_lo
	v_cmp_gt_i32_e32 vcc_lo, 1, v21
	v_lshrrev_b32_e32 v16, 2, v16
	v_cmp_eq_u32_e64 s0, 3, v28
	s_wait_alu 0xfffd
	v_cndmask_b32_e32 v20, v33, v20, vcc_lo
	v_cmp_gt_i32_e32 vcc_lo, 1, v23
	s_delay_alu instid0(VALU_DEP_2)
	v_and_b32_e32 v30, 7, v20
	s_wait_alu 0xfffd
	v_cndmask_b32_e32 v22, v35, v22, vcc_lo
	v_cmp_gt_i32_e32 vcc_lo, 1, v25
	v_lshrrev_b32_e32 v20, 2, v20
	v_cmp_lt_i32_e64 s3, 5, v30
	v_cmp_eq_u32_e64 s4, 3, v30
	s_wait_alu 0xfffd
	v_cndmask_b32_e32 v24, v37, v24, vcc_lo
	v_cmp_gt_i32_e32 vcc_lo, 1, v27
	s_delay_alu instid0(VALU_DEP_2)
	v_and_b32_e32 v32, 7, v24
	s_wait_alu 0xfffd
	v_cndmask_b32_e32 v26, v39, v26, vcc_lo
	v_cmp_lt_i32_e32 vcc_lo, 5, v28
	v_lshrrev_b32_e32 v24, 2, v24
	v_cmp_lt_i32_e64 s7, 5, v32
	v_cmp_eq_u32_e64 s8, 3, v32
	s_or_b32 vcc_lo, s0, vcc_lo
	s_wait_alu 0xfffe
	v_add_co_ci_u32_e32 v16, vcc_lo, 0, v16, vcc_lo
	v_and_b32_e32 v29, 7, v18
	v_lshrrev_b32_e32 v18, 2, v18
	s_delay_alu instid0(VALU_DEP_2) | instskip(SKIP_1) | instid1(VALU_DEP_1)
	v_cmp_lt_i32_e64 s1, 5, v29
	v_cmp_eq_u32_e64 s2, 3, v29
	s_or_b32 vcc_lo, s2, s1
	s_wait_alu 0xfffe
	v_add_co_ci_u32_e32 v18, vcc_lo, 0, v18, vcc_lo
	s_or_b32 vcc_lo, s4, s3
	s_wait_alu 0xfffe
	v_add_co_ci_u32_e32 v20, vcc_lo, 0, v20, vcc_lo
	v_and_b32_e32 v31, 7, v22
	v_lshrrev_b32_e32 v22, 2, v22
	s_delay_alu instid0(VALU_DEP_2) | instskip(SKIP_1) | instid1(VALU_DEP_1)
	v_cmp_lt_i32_e64 s5, 5, v31
	v_cmp_eq_u32_e64 s6, 3, v31
	s_or_b32 vcc_lo, s6, s5
	s_wait_alu 0xfffe
	v_add_co_ci_u32_e32 v22, vcc_lo, 0, v22, vcc_lo
	s_or_b32 vcc_lo, s8, s7
	s_wait_alu 0xfffe
	v_add_co_ci_u32_e32 v24, vcc_lo, 0, v24, vcc_lo
	v_and_b32_e32 v33, 7, v26
	v_lshrrev_b32_e32 v26, 2, v26
	s_delay_alu instid0(VALU_DEP_2) | instskip(SKIP_1) | instid1(VALU_DEP_1)
	v_cmp_lt_i32_e64 s9, 5, v33
	v_cmp_eq_u32_e64 s10, 3, v33
	s_or_b32 vcc_lo, s10, s9
	s_wait_alu 0xfffe
	v_add_co_ci_u32_e32 v26, vcc_lo, 0, v26, vcc_lo
	v_cmp_gt_i32_e32 vcc_lo, 31, v17
	s_wait_alu 0xfffd
	v_cndmask_b32_e32 v16, 0x7c00, v16, vcc_lo
	v_cmp_gt_i32_e32 vcc_lo, 31, v19
	s_wait_alu 0xfffd
	v_cndmask_b32_e32 v18, 0x7c00, v18, vcc_lo
	;; [unrolled: 3-line block ×6, first 2 shown]
	v_cmp_eq_u32_e32 vcc_lo, 0x40f, v17
	s_wait_alu 0xfffd
	v_cndmask_b32_e32 v2, v16, v2, vcc_lo
	v_cmp_eq_u32_e32 vcc_lo, 0x40f, v19
	s_delay_alu instid0(VALU_DEP_2) | instskip(SKIP_3) | instid1(VALU_DEP_2)
	v_and_or_b32 v2, 0x8000, v3, v2
	s_wait_alu 0xfffd
	v_cndmask_b32_e32 v4, v18, v4, vcc_lo
	v_cmp_eq_u32_e32 vcc_lo, 0x40f, v21
	v_and_or_b32 v4, 0x8000, v5, v4
	s_wait_alu 0xfffd
	v_cndmask_b32_e32 v6, v20, v6, vcc_lo
	v_cmp_eq_u32_e32 vcc_lo, 0x40f, v23
	s_delay_alu instid0(VALU_DEP_2) | instskip(SKIP_3) | instid1(VALU_DEP_2)
	v_and_or_b32 v3, 0x8000, v7, v6
	s_wait_alu 0xfffd
	v_cndmask_b32_e32 v8, v22, v8, vcc_lo
	v_cmp_eq_u32_e32 vcc_lo, 0x40f, v25
	v_and_or_b32 v6, 0x8000, v9, v8
	s_wait_alu 0xfffd
	v_cndmask_b32_e32 v10, v24, v10, vcc_lo
	v_cmp_eq_u32_e32 vcc_lo, 0x40f, v27
	v_and_b32_e32 v8, 0xffff, v2
	v_and_b32_e32 v9, 0xffff, v3
	s_delay_alu instid0(VALU_DEP_4)
	v_and_or_b32 v5, 0x8000, v11, v10
	s_wait_alu 0xfffd
	v_cndmask_b32_e32 v12, v26, v12, vcc_lo
	v_add_co_u32 v2, vcc_lo, v14, s12
	v_lshl_or_b32 v4, v4, 16, v8
	v_and_b32_e32 v5, 0xffff, v5
	s_delay_alu instid0(VALU_DEP_4) | instskip(SKIP_3) | instid1(VALU_DEP_3)
	v_and_or_b32 v7, 0x8000, v13, v12
	v_lshl_or_b32 v6, v6, 16, v9
	s_wait_alu 0xfffd
	v_add_co_ci_u32_e32 v3, vcc_lo, s13, v15, vcc_lo
	v_lshl_or_b32 v5, v7, 16, v5
	global_store_b32 v[0:1], v4, off
	global_store_b32 v[14:15], v6, off
	;; [unrolled: 1-line block ×3, first 2 shown]
.LBB0_39:
	s_nop 0
	s_sendmsg sendmsg(MSG_DEALLOC_VGPRS)
	s_endpgm
	.section	.rodata,"a",@progbits
	.p2align	6, 0x0
	.amdhsa_kernel bluestein_single_back_len810_dim1_half_op_CI_CI
		.amdhsa_group_segment_fixed_size 3240
		.amdhsa_private_segment_fixed_size 0
		.amdhsa_kernarg_size 104
		.amdhsa_user_sgpr_count 2
		.amdhsa_user_sgpr_dispatch_ptr 0
		.amdhsa_user_sgpr_queue_ptr 0
		.amdhsa_user_sgpr_kernarg_segment_ptr 1
		.amdhsa_user_sgpr_dispatch_id 0
		.amdhsa_user_sgpr_private_segment_size 0
		.amdhsa_wavefront_size32 1
		.amdhsa_uses_dynamic_stack 0
		.amdhsa_enable_private_segment 0
		.amdhsa_system_sgpr_workgroup_id_x 1
		.amdhsa_system_sgpr_workgroup_id_y 0
		.amdhsa_system_sgpr_workgroup_id_z 0
		.amdhsa_system_sgpr_workgroup_info 0
		.amdhsa_system_vgpr_workitem_id 0
		.amdhsa_next_free_vgpr 143
		.amdhsa_next_free_sgpr 18
		.amdhsa_reserve_vcc 1
		.amdhsa_float_round_mode_32 0
		.amdhsa_float_round_mode_16_64 0
		.amdhsa_float_denorm_mode_32 3
		.amdhsa_float_denorm_mode_16_64 3
		.amdhsa_fp16_overflow 0
		.amdhsa_workgroup_processor_mode 1
		.amdhsa_memory_ordered 1
		.amdhsa_forward_progress 0
		.amdhsa_round_robin_scheduling 0
		.amdhsa_exception_fp_ieee_invalid_op 0
		.amdhsa_exception_fp_denorm_src 0
		.amdhsa_exception_fp_ieee_div_zero 0
		.amdhsa_exception_fp_ieee_overflow 0
		.amdhsa_exception_fp_ieee_underflow 0
		.amdhsa_exception_fp_ieee_inexact 0
		.amdhsa_exception_int_div_zero 0
	.end_amdhsa_kernel
	.text
.Lfunc_end0:
	.size	bluestein_single_back_len810_dim1_half_op_CI_CI, .Lfunc_end0-bluestein_single_back_len810_dim1_half_op_CI_CI
                                        ; -- End function
	.section	.AMDGPU.csdata,"",@progbits
; Kernel info:
; codeLenInByte = 21472
; NumSgprs: 20
; NumVgprs: 143
; ScratchSize: 0
; MemoryBound: 0
; FloatMode: 240
; IeeeMode: 1
; LDSByteSize: 3240 bytes/workgroup (compile time only)
; SGPRBlocks: 2
; VGPRBlocks: 17
; NumSGPRsForWavesPerEU: 20
; NumVGPRsForWavesPerEU: 143
; Occupancy: 10
; WaveLimiterHint : 1
; COMPUTE_PGM_RSRC2:SCRATCH_EN: 0
; COMPUTE_PGM_RSRC2:USER_SGPR: 2
; COMPUTE_PGM_RSRC2:TRAP_HANDLER: 0
; COMPUTE_PGM_RSRC2:TGID_X_EN: 1
; COMPUTE_PGM_RSRC2:TGID_Y_EN: 0
; COMPUTE_PGM_RSRC2:TGID_Z_EN: 0
; COMPUTE_PGM_RSRC2:TIDIG_COMP_CNT: 0
	.text
	.p2alignl 7, 3214868480
	.fill 96, 4, 3214868480
	.type	__hip_cuid_b87b5b2230a89802,@object ; @__hip_cuid_b87b5b2230a89802
	.section	.bss,"aw",@nobits
	.globl	__hip_cuid_b87b5b2230a89802
__hip_cuid_b87b5b2230a89802:
	.byte	0                               ; 0x0
	.size	__hip_cuid_b87b5b2230a89802, 1

	.ident	"AMD clang version 19.0.0git (https://github.com/RadeonOpenCompute/llvm-project roc-6.4.0 25133 c7fe45cf4b819c5991fe208aaa96edf142730f1d)"
	.section	".note.GNU-stack","",@progbits
	.addrsig
	.addrsig_sym __hip_cuid_b87b5b2230a89802
	.amdgpu_metadata
---
amdhsa.kernels:
  - .args:
      - .actual_access:  read_only
        .address_space:  global
        .offset:         0
        .size:           8
        .value_kind:     global_buffer
      - .actual_access:  read_only
        .address_space:  global
        .offset:         8
        .size:           8
        .value_kind:     global_buffer
      - .actual_access:  read_only
        .address_space:  global
        .offset:         16
        .size:           8
        .value_kind:     global_buffer
      - .actual_access:  read_only
        .address_space:  global
        .offset:         24
        .size:           8
        .value_kind:     global_buffer
      - .actual_access:  read_only
        .address_space:  global
        .offset:         32
        .size:           8
        .value_kind:     global_buffer
      - .offset:         40
        .size:           8
        .value_kind:     by_value
      - .address_space:  global
        .offset:         48
        .size:           8
        .value_kind:     global_buffer
      - .address_space:  global
        .offset:         56
        .size:           8
        .value_kind:     global_buffer
      - .address_space:  global
        .offset:         64
        .size:           8
        .value_kind:     global_buffer
      - .address_space:  global
        .offset:         72
        .size:           8
        .value_kind:     global_buffer
      - .offset:         80
        .size:           4
        .value_kind:     by_value
      - .address_space:  global
        .offset:         88
        .size:           8
        .value_kind:     global_buffer
      - .address_space:  global
        .offset:         96
        .size:           8
        .value_kind:     global_buffer
    .group_segment_fixed_size: 3240
    .kernarg_segment_align: 8
    .kernarg_segment_size: 104
    .language:       OpenCL C
    .language_version:
      - 2
      - 0
    .max_flat_workgroup_size: 81
    .name:           bluestein_single_back_len810_dim1_half_op_CI_CI
    .private_segment_fixed_size: 0
    .sgpr_count:     20
    .sgpr_spill_count: 0
    .symbol:         bluestein_single_back_len810_dim1_half_op_CI_CI.kd
    .uniform_work_group_size: 1
    .uses_dynamic_stack: false
    .vgpr_count:     143
    .vgpr_spill_count: 0
    .wavefront_size: 32
    .workgroup_processor_mode: 1
amdhsa.target:   amdgcn-amd-amdhsa--gfx1201
amdhsa.version:
  - 1
  - 2
...

	.end_amdgpu_metadata
